;; amdgpu-corpus repo=ROCm/rocFFT kind=compiled arch=gfx906 opt=O3
	.text
	.amdgcn_target "amdgcn-amd-amdhsa--gfx906"
	.amdhsa_code_object_version 6
	.protected	fft_rtc_back_len2700_factors_3_10_10_3_3_wgs_90_tpt_90_halfLds_half_op_CI_CI_sbrr_dirReg ; -- Begin function fft_rtc_back_len2700_factors_3_10_10_3_3_wgs_90_tpt_90_halfLds_half_op_CI_CI_sbrr_dirReg
	.globl	fft_rtc_back_len2700_factors_3_10_10_3_3_wgs_90_tpt_90_halfLds_half_op_CI_CI_sbrr_dirReg
	.p2align	8
	.type	fft_rtc_back_len2700_factors_3_10_10_3_3_wgs_90_tpt_90_halfLds_half_op_CI_CI_sbrr_dirReg,@function
fft_rtc_back_len2700_factors_3_10_10_3_3_wgs_90_tpt_90_halfLds_half_op_CI_CI_sbrr_dirReg: ; @fft_rtc_back_len2700_factors_3_10_10_3_3_wgs_90_tpt_90_halfLds_half_op_CI_CI_sbrr_dirReg
; %bb.0:
	s_load_dwordx4 s[16:19], s[4:5], 0x18
	s_load_dwordx4 s[12:15], s[4:5], 0x0
	;; [unrolled: 1-line block ×3, first 2 shown]
	v_mul_u32_u24_e32 v1, 0x2d9, v0
	v_mov_b32_e32 v7, 0
	s_waitcnt lgkmcnt(0)
	s_load_dwordx2 s[20:21], s[16:17], 0x0
	s_load_dwordx2 s[2:3], s[18:19], 0x0
	v_cmp_lt_u64_e64 s[0:1], s[14:15], 2
	v_mov_b32_e32 v5, 0
	v_add_u32_sdwa v9, s6, v1 dst_sel:DWORD dst_unused:UNUSED_PAD src0_sel:DWORD src1_sel:WORD_1
	v_mov_b32_e32 v10, v7
	s_and_b64 vcc, exec, s[0:1]
	v_mov_b32_e32 v6, 0
	s_cbranch_vccnz .LBB0_8
; %bb.1:
	s_load_dwordx2 s[0:1], s[4:5], 0x10
	s_add_u32 s6, s18, 8
	s_addc_u32 s7, s19, 0
	s_add_u32 s22, s16, 8
	s_addc_u32 s23, s17, 0
	v_mov_b32_e32 v5, 0
	s_waitcnt lgkmcnt(0)
	s_add_u32 s24, s0, 8
	v_mov_b32_e32 v6, 0
	v_mov_b32_e32 v1, v5
	s_addc_u32 s25, s1, 0
	s_mov_b64 s[26:27], 1
	v_mov_b32_e32 v2, v6
.LBB0_2:                                ; =>This Inner Loop Header: Depth=1
	s_load_dwordx2 s[28:29], s[24:25], 0x0
                                        ; implicit-def: $vgpr3_vgpr4
	s_waitcnt lgkmcnt(0)
	v_or_b32_e32 v8, s29, v10
	v_cmp_ne_u64_e32 vcc, 0, v[7:8]
	s_and_saveexec_b64 s[0:1], vcc
	s_xor_b64 s[30:31], exec, s[0:1]
	s_cbranch_execz .LBB0_4
; %bb.3:                                ;   in Loop: Header=BB0_2 Depth=1
	v_cvt_f32_u32_e32 v3, s28
	v_cvt_f32_u32_e32 v4, s29
	s_sub_u32 s0, 0, s28
	s_subb_u32 s1, 0, s29
	v_mac_f32_e32 v3, 0x4f800000, v4
	v_rcp_f32_e32 v3, v3
	v_mul_f32_e32 v3, 0x5f7ffffc, v3
	v_mul_f32_e32 v4, 0x2f800000, v3
	v_trunc_f32_e32 v4, v4
	v_mac_f32_e32 v3, 0xcf800000, v4
	v_cvt_u32_f32_e32 v4, v4
	v_cvt_u32_f32_e32 v3, v3
	v_mul_lo_u32 v8, s0, v4
	v_mul_hi_u32 v11, s0, v3
	v_mul_lo_u32 v13, s1, v3
	v_mul_lo_u32 v12, s0, v3
	v_add_u32_e32 v8, v11, v8
	v_add_u32_e32 v8, v8, v13
	v_mul_hi_u32 v11, v3, v12
	v_mul_lo_u32 v13, v3, v8
	v_mul_hi_u32 v15, v3, v8
	v_mul_hi_u32 v14, v4, v12
	v_mul_lo_u32 v12, v4, v12
	v_mul_hi_u32 v16, v4, v8
	v_add_co_u32_e32 v11, vcc, v11, v13
	v_addc_co_u32_e32 v13, vcc, 0, v15, vcc
	v_mul_lo_u32 v8, v4, v8
	v_add_co_u32_e32 v11, vcc, v11, v12
	v_addc_co_u32_e32 v11, vcc, v13, v14, vcc
	v_addc_co_u32_e32 v12, vcc, 0, v16, vcc
	v_add_co_u32_e32 v8, vcc, v11, v8
	v_addc_co_u32_e32 v11, vcc, 0, v12, vcc
	v_add_co_u32_e32 v3, vcc, v3, v8
	v_addc_co_u32_e32 v4, vcc, v4, v11, vcc
	v_mul_lo_u32 v8, s0, v4
	v_mul_hi_u32 v11, s0, v3
	v_mul_lo_u32 v12, s1, v3
	v_mul_lo_u32 v13, s0, v3
	v_add_u32_e32 v8, v11, v8
	v_add_u32_e32 v8, v8, v12
	v_mul_lo_u32 v14, v3, v8
	v_mul_hi_u32 v15, v3, v13
	v_mul_hi_u32 v16, v3, v8
	;; [unrolled: 1-line block ×3, first 2 shown]
	v_mul_lo_u32 v13, v4, v13
	v_mul_hi_u32 v11, v4, v8
	v_add_co_u32_e32 v14, vcc, v15, v14
	v_addc_co_u32_e32 v15, vcc, 0, v16, vcc
	v_mul_lo_u32 v8, v4, v8
	v_add_co_u32_e32 v13, vcc, v14, v13
	v_addc_co_u32_e32 v12, vcc, v15, v12, vcc
	v_addc_co_u32_e32 v11, vcc, 0, v11, vcc
	v_add_co_u32_e32 v8, vcc, v12, v8
	v_addc_co_u32_e32 v11, vcc, 0, v11, vcc
	v_add_co_u32_e32 v8, vcc, v3, v8
	v_addc_co_u32_e32 v11, vcc, v4, v11, vcc
	v_mad_u64_u32 v[3:4], s[0:1], v9, v11, 0
	v_mul_hi_u32 v12, v9, v8
	v_add_co_u32_e32 v13, vcc, v12, v3
	v_addc_co_u32_e32 v14, vcc, 0, v4, vcc
	v_mad_u64_u32 v[3:4], s[0:1], v10, v8, 0
	v_mad_u64_u32 v[11:12], s[0:1], v10, v11, 0
	v_add_co_u32_e32 v3, vcc, v13, v3
	v_addc_co_u32_e32 v3, vcc, v14, v4, vcc
	v_addc_co_u32_e32 v4, vcc, 0, v12, vcc
	v_add_co_u32_e32 v8, vcc, v3, v11
	v_addc_co_u32_e32 v11, vcc, 0, v4, vcc
	v_mul_lo_u32 v12, s29, v8
	v_mul_lo_u32 v13, s28, v11
	v_mad_u64_u32 v[3:4], s[0:1], s28, v8, 0
	v_add3_u32 v4, v4, v13, v12
	v_sub_u32_e32 v12, v10, v4
	v_mov_b32_e32 v13, s29
	v_sub_co_u32_e32 v3, vcc, v9, v3
	v_subb_co_u32_e64 v12, s[0:1], v12, v13, vcc
	v_subrev_co_u32_e64 v13, s[0:1], s28, v3
	v_subbrev_co_u32_e64 v12, s[0:1], 0, v12, s[0:1]
	v_cmp_le_u32_e64 s[0:1], s29, v12
	v_cndmask_b32_e64 v14, 0, -1, s[0:1]
	v_cmp_le_u32_e64 s[0:1], s28, v13
	v_cndmask_b32_e64 v13, 0, -1, s[0:1]
	v_cmp_eq_u32_e64 s[0:1], s29, v12
	v_cndmask_b32_e64 v12, v14, v13, s[0:1]
	v_add_co_u32_e64 v13, s[0:1], 2, v8
	v_addc_co_u32_e64 v14, s[0:1], 0, v11, s[0:1]
	v_add_co_u32_e64 v15, s[0:1], 1, v8
	v_addc_co_u32_e64 v16, s[0:1], 0, v11, s[0:1]
	v_subb_co_u32_e32 v4, vcc, v10, v4, vcc
	v_cmp_ne_u32_e64 s[0:1], 0, v12
	v_cmp_le_u32_e32 vcc, s29, v4
	v_cndmask_b32_e64 v12, v16, v14, s[0:1]
	v_cndmask_b32_e64 v14, 0, -1, vcc
	v_cmp_le_u32_e32 vcc, s28, v3
	v_cndmask_b32_e64 v3, 0, -1, vcc
	v_cmp_eq_u32_e32 vcc, s29, v4
	v_cndmask_b32_e32 v3, v14, v3, vcc
	v_cmp_ne_u32_e32 vcc, 0, v3
	v_cndmask_b32_e64 v3, v15, v13, s[0:1]
	v_cndmask_b32_e32 v4, v11, v12, vcc
	v_cndmask_b32_e32 v3, v8, v3, vcc
.LBB0_4:                                ;   in Loop: Header=BB0_2 Depth=1
	s_andn2_saveexec_b64 s[0:1], s[30:31]
	s_cbranch_execz .LBB0_6
; %bb.5:                                ;   in Loop: Header=BB0_2 Depth=1
	v_cvt_f32_u32_e32 v3, s28
	s_sub_i32 s30, 0, s28
	v_rcp_iflag_f32_e32 v3, v3
	v_mul_f32_e32 v3, 0x4f7ffffe, v3
	v_cvt_u32_f32_e32 v3, v3
	v_mul_lo_u32 v4, s30, v3
	v_mul_hi_u32 v4, v3, v4
	v_add_u32_e32 v3, v3, v4
	v_mul_hi_u32 v3, v9, v3
	v_mul_lo_u32 v4, v3, s28
	v_add_u32_e32 v8, 1, v3
	v_sub_u32_e32 v4, v9, v4
	v_subrev_u32_e32 v11, s28, v4
	v_cmp_le_u32_e32 vcc, s28, v4
	v_cndmask_b32_e32 v4, v4, v11, vcc
	v_cndmask_b32_e32 v3, v3, v8, vcc
	v_add_u32_e32 v8, 1, v3
	v_cmp_le_u32_e32 vcc, s28, v4
	v_cndmask_b32_e32 v3, v3, v8, vcc
	v_mov_b32_e32 v4, v7
.LBB0_6:                                ;   in Loop: Header=BB0_2 Depth=1
	s_or_b64 exec, exec, s[0:1]
	v_mul_lo_u32 v8, v4, s28
	v_mul_lo_u32 v13, v3, s29
	v_mad_u64_u32 v[11:12], s[0:1], v3, s28, 0
	s_load_dwordx2 s[0:1], s[22:23], 0x0
	s_load_dwordx2 s[28:29], s[6:7], 0x0
	v_add3_u32 v8, v12, v13, v8
	v_sub_co_u32_e32 v9, vcc, v9, v11
	v_subb_co_u32_e32 v8, vcc, v10, v8, vcc
	s_waitcnt lgkmcnt(0)
	v_mul_lo_u32 v10, s0, v8
	v_mul_lo_u32 v11, s1, v9
	v_mad_u64_u32 v[5:6], s[0:1], s0, v9, v[5:6]
	v_mul_lo_u32 v8, s28, v8
	v_mul_lo_u32 v12, s29, v9
	v_mad_u64_u32 v[1:2], s[0:1], s28, v9, v[1:2]
	s_add_u32 s26, s26, 1
	s_addc_u32 s27, s27, 0
	s_add_u32 s6, s6, 8
	v_add3_u32 v2, v12, v2, v8
	s_addc_u32 s7, s7, 0
	v_mov_b32_e32 v8, s14
	s_add_u32 s22, s22, 8
	v_mov_b32_e32 v9, s15
	s_addc_u32 s23, s23, 0
	v_cmp_ge_u64_e32 vcc, s[26:27], v[8:9]
	s_add_u32 s24, s24, 8
	v_add3_u32 v6, v11, v6, v10
	s_addc_u32 s25, s25, 0
	s_cbranch_vccnz .LBB0_9
; %bb.7:                                ;   in Loop: Header=BB0_2 Depth=1
	v_mov_b32_e32 v10, v4
	v_mov_b32_e32 v9, v3
	s_branch .LBB0_2
.LBB0_8:
	v_mov_b32_e32 v1, v5
	v_mov_b32_e32 v3, v9
	;; [unrolled: 1-line block ×4, first 2 shown]
.LBB0_9:
	s_load_dwordx2 s[0:1], s[4:5], 0x28
	s_lshl_b64 s[14:15], s[14:15], 3
	s_add_u32 s4, s18, s14
	s_addc_u32 s5, s19, s15
                                        ; implicit-def: $vgpr22
                                        ; implicit-def: $vgpr10
                                        ; implicit-def: $vgpr9
                                        ; implicit-def: $vgpr23
                                        ; implicit-def: $vgpr24
                                        ; implicit-def: $vgpr25
                                        ; implicit-def: $vgpr26
                                        ; implicit-def: $vgpr27
                                        ; implicit-def: $vgpr28
                                        ; implicit-def: $vgpr29
	s_waitcnt lgkmcnt(0)
	v_cmp_gt_u64_e32 vcc, s[0:1], v[3:4]
	v_cmp_le_u64_e64 s[0:1], s[0:1], v[3:4]
	s_and_saveexec_b64 s[6:7], s[0:1]
	s_xor_b64 s[0:1], exec, s[6:7]
	s_cbranch_execz .LBB0_11
; %bb.10:
	s_mov_b32 s6, 0x2d82d83
	v_mul_hi_u32 v5, v0, s6
	v_mul_u32_u24_e32 v5, 0x5a, v5
	v_sub_u32_e32 v22, v0, v5
	v_add_u32_e32 v10, 0x5a, v22
	v_add_u32_e32 v9, 0xb4, v22
	;; [unrolled: 1-line block ×9, first 2 shown]
                                        ; implicit-def: $vgpr0
                                        ; implicit-def: $vgpr5_vgpr6
.LBB0_11:
	s_or_saveexec_b64 s[6:7], s[0:1]
                                        ; implicit-def: $vgpr66
                                        ; implicit-def: $vgpr59
                                        ; implicit-def: $vgpr67
                                        ; implicit-def: $vgpr51
                                        ; implicit-def: $vgpr68
                                        ; implicit-def: $vgpr34
                                        ; implicit-def: $vgpr69
                                        ; implicit-def: $vgpr63
                                        ; implicit-def: $vgpr70
                                        ; implicit-def: $vgpr64
                                        ; implicit-def: $vgpr71
                                        ; implicit-def: $vgpr35
                                        ; implicit-def: $vgpr72
                                        ; implicit-def: $vgpr42
                                        ; implicit-def: $vgpr74
                                        ; implicit-def: $vgpr43
                                        ; implicit-def: $vgpr76
                                        ; implicit-def: $vgpr32
                                        ; implicit-def: $vgpr78
                                        ; implicit-def: $vgpr44
                                        ; implicit-def: $vgpr79
                                        ; implicit-def: $vgpr45
                                        ; implicit-def: $vgpr80
                                        ; implicit-def: $vgpr33
                                        ; implicit-def: $vgpr81
                                        ; implicit-def: $vgpr46
                                        ; implicit-def: $vgpr82
                                        ; implicit-def: $vgpr47
                                        ; implicit-def: $vgpr83
                                        ; implicit-def: $vgpr11
                                        ; implicit-def: $vgpr84
                                        ; implicit-def: $vgpr17
                                        ; implicit-def: $vgpr86
                                        ; implicit-def: $vgpr18
                                        ; implicit-def: $vgpr87
                                        ; implicit-def: $vgpr12
                                        ; implicit-def: $vgpr88
                                        ; implicit-def: $vgpr20
                                        ; implicit-def: $vgpr90
                                        ; implicit-def: $vgpr21
                                        ; implicit-def: $vgpr91
                                        ; implicit-def: $vgpr30
                                        ; implicit-def: $vgpr92
                                        ; implicit-def: $vgpr41
                                        ; implicit-def: $vgpr93
                                        ; implicit-def: $vgpr13
                                        ; implicit-def: $vgpr94
                                        ; implicit-def: $vgpr7
                                        ; implicit-def: $vgpr95
                                        ; implicit-def: $vgpr14
                                        ; implicit-def: $vgpr96
                                        ; implicit-def: $vgpr15
                                        ; implicit-def: $vgpr97
                                        ; implicit-def: $vgpr8
                                        ; implicit-def: $vgpr36
                                        ; implicit-def: $vgpr16
                                        ; implicit-def: $vgpr37
                                        ; implicit-def: $vgpr19
                                        ; implicit-def: $vgpr38
                                        ; implicit-def: $vgpr31
	s_xor_b64 exec, exec, s[6:7]
	s_cbranch_execz .LBB0_13
; %bb.12:
	s_add_u32 s0, s16, s14
	s_mov_b32 s14, 0x2d82d83
	v_mul_hi_u32 v7, v0, s14
	s_addc_u32 s1, s17, s15
	s_load_dwordx2 s[0:1], s[0:1], 0x0
	v_lshlrev_b64 v[5:6], 2, v[5:6]
	v_mul_u32_u24_e32 v7, 0x5a, v7
	v_sub_u32_e32 v22, v0, v7
	v_mad_u64_u32 v[7:8], s[14:15], s20, v22, 0
	s_waitcnt lgkmcnt(0)
	v_mul_lo_u32 v13, s1, v3
	v_mul_lo_u32 v14, s0, v4
	v_mad_u64_u32 v[9:10], s[0:1], s0, v3, 0
	v_mov_b32_e32 v0, v8
	v_mad_u64_u32 v[11:12], s[0:1], s21, v22, v[0:1]
	v_add3_u32 v10, v10, v14, v13
	v_lshlrev_b64 v[9:10], 2, v[9:10]
	v_mov_b32_e32 v8, v11
	v_mov_b32_e32 v0, s9
	v_add_co_u32_e64 v11, s[0:1], s8, v9
	v_add_u32_e32 v13, 0x384, v22
	v_addc_co_u32_e64 v12, s[0:1], v0, v10, s[0:1]
	v_mad_u64_u32 v[9:10], s[0:1], s20, v13, 0
	v_add_co_u32_e64 v0, s[0:1], v11, v5
	v_addc_co_u32_e64 v5, s[0:1], v12, v6, s[0:1]
	v_lshlrev_b64 v[6:7], 2, v[7:8]
	v_mov_b32_e32 v8, v10
	v_mad_u64_u32 v[10:11], s[0:1], s21, v13, v[8:9]
	v_add_u32_e32 v13, 0x708, v22
	v_mad_u64_u32 v[11:12], s[0:1], s20, v13, 0
	v_add_co_u32_e64 v17, s[0:1], v0, v6
	v_addc_co_u32_e64 v18, s[0:1], v5, v7, s[0:1]
	v_lshlrev_b64 v[6:7], 2, v[9:10]
	v_mov_b32_e32 v8, v12
	v_add_u32_e32 v10, 0x5a, v22
	v_mad_u64_u32 v[8:9], s[0:1], s21, v13, v[8:9]
	v_mad_u64_u32 v[13:14], s[0:1], s20, v10, 0
	v_add_co_u32_e64 v20, s[0:1], v0, v6
	v_mov_b32_e32 v12, v8
	v_mov_b32_e32 v8, v14
	v_addc_co_u32_e64 v21, s[0:1], v5, v7, s[0:1]
	v_mad_u64_u32 v[8:9], s[0:1], s21, v10, v[8:9]
	v_add_u32_e32 v9, 0x3de, v22
	v_lshlrev_b64 v[6:7], 2, v[11:12]
	v_mad_u64_u32 v[11:12], s[0:1], s20, v9, 0
	v_add_co_u32_e64 v24, s[0:1], v0, v6
	v_mov_b32_e32 v14, v8
	v_mov_b32_e32 v8, v12
	v_addc_co_u32_e64 v25, s[0:1], v5, v7, s[0:1]
	v_mad_u64_u32 v[8:9], s[0:1], s21, v9, v[8:9]
	v_add_u32_e32 v9, 0x762, v22
	v_lshlrev_b64 v[6:7], 2, v[13:14]
	;; [unrolled: 8-line block ×3, first 2 shown]
	v_mad_u64_u32 v[11:12], s[0:1], s20, v9, 0
	v_add_co_u32_e64 v28, s[0:1], v0, v6
	v_mov_b32_e32 v14, v8
	v_mov_b32_e32 v8, v12
	v_addc_co_u32_e64 v29, s[0:1], v5, v7, s[0:1]
	v_lshlrev_b64 v[6:7], 2, v[13:14]
	v_mad_u64_u32 v[12:13], s[0:1], s21, v9, v[8:9]
	v_add_u32_e32 v15, 0x438, v22
	v_mad_u64_u32 v[13:14], s[0:1], s20, v15, 0
	v_add_co_u32_e64 v32, s[0:1], v0, v6
	v_mov_b32_e32 v8, v14
	v_addc_co_u32_e64 v33, s[0:1], v5, v7, s[0:1]
	v_lshlrev_b64 v[6:7], 2, v[11:12]
	v_mad_u64_u32 v[11:12], s[0:1], s21, v15, v[8:9]
	v_add_co_u32_e64 v34, s[0:1], v0, v6
	v_add_u32_e32 v8, 0x7bc, v22
	v_addc_co_u32_e64 v35, s[0:1], v5, v7, s[0:1]
	v_mov_b32_e32 v14, v11
	v_mad_u64_u32 v[11:12], s[0:1], s20, v8, 0
	v_lshlrev_b64 v[6:7], 2, v[13:14]
	v_add_u32_e32 v23, 0x10e, v22
	v_add_co_u32_e64 v36, s[0:1], v0, v6
	v_mov_b32_e32 v6, v12
	v_addc_co_u32_e64 v37, s[0:1], v5, v7, s[0:1]
	v_mad_u64_u32 v[6:7], s[0:1], s21, v8, v[6:7]
	global_load_dword v31, v[17:18], off
	global_load_dword v19, v[20:21], off
	;; [unrolled: 1-line block ×8, first 2 shown]
	v_mad_u64_u32 v[38:39], s[0:1], s20, v23, 0
	v_mov_b32_e32 v12, v6
	v_lshlrev_b64 v[11:12], 2, v[11:12]
	v_mov_b32_e32 v6, v39
	v_add_u32_e32 v24, 0x168, v22
	v_add_u32_e32 v25, 0x1c2, v22
	;; [unrolled: 1-line block ×3, first 2 shown]
	s_waitcnt vmcnt(4)
	v_lshrrev_b32_e32 v97, 16, v8
	s_waitcnt vmcnt(3)
	v_lshrrev_b32_e32 v96, 16, v15
	;; [unrolled: 2-line block ×3, first 2 shown]
	s_waitcnt vmcnt(1)
	v_mad_u64_u32 v[17:18], s[0:1], s21, v23, v[6:7]
	v_add_u32_e32 v18, 0x492, v22
	v_mad_u64_u32 v[20:21], s[0:1], s20, v18, 0
	v_add_co_u32_e64 v26, s[0:1], v0, v11
	v_mov_b32_e32 v6, v21
	v_addc_co_u32_e64 v27, s[0:1], v5, v12, s[0:1]
	v_mov_b32_e32 v39, v17
	v_mad_u64_u32 v[17:18], s[0:1], s21, v18, v[6:7]
	v_add_u32_e32 v18, 0x816, v22
	v_mad_u64_u32 v[28:29], s[0:1], s20, v18, 0
	v_lshlrev_b64 v[11:12], 2, v[38:39]
	v_mov_b32_e32 v21, v17
	v_add_co_u32_e64 v32, s[0:1], v0, v11
	v_addc_co_u32_e64 v33, s[0:1], v5, v12, s[0:1]
	v_lshlrev_b64 v[11:12], 2, v[20:21]
	v_mov_b32_e32 v6, v29
	v_mad_u64_u32 v[20:21], s[0:1], s20, v24, 0
	v_mad_u64_u32 v[17:18], s[0:1], s21, v18, v[6:7]
	v_add_co_u32_e64 v34, s[0:1], v0, v11
	v_mov_b32_e32 v6, v21
	v_addc_co_u32_e64 v35, s[0:1], v5, v12, s[0:1]
	v_mov_b32_e32 v29, v17
	v_mad_u64_u32 v[17:18], s[0:1], s21, v24, v[6:7]
	v_add_u32_e32 v18, 0x4ec, v22
	v_lshlrev_b64 v[11:12], 2, v[28:29]
	v_mad_u64_u32 v[28:29], s[0:1], s20, v18, 0
	v_add_co_u32_e64 v36, s[0:1], v0, v11
	v_mov_b32_e32 v6, v29
	v_addc_co_u32_e64 v37, s[0:1], v5, v12, s[0:1]
	v_mov_b32_e32 v21, v17
	v_mad_u64_u32 v[17:18], s[0:1], s21, v18, v[6:7]
	v_add_u32_e32 v18, 0x870, v22
	v_lshlrev_b64 v[11:12], 2, v[20:21]
	v_mad_u64_u32 v[20:21], s[0:1], s20, v18, 0
	v_add_co_u32_e64 v38, s[0:1], v0, v11
	v_mov_b32_e32 v29, v17
	v_addc_co_u32_e64 v39, s[0:1], v5, v12, s[0:1]
	v_lshlrev_b64 v[11:12], 2, v[28:29]
	v_mov_b32_e32 v6, v21
	v_mad_u64_u32 v[28:29], s[0:1], s20, v25, 0
	v_mad_u64_u32 v[17:18], s[0:1], s21, v18, v[6:7]
	v_add_co_u32_e64 v42, s[0:1], v0, v11
	v_mov_b32_e32 v6, v29
	v_addc_co_u32_e64 v43, s[0:1], v5, v12, s[0:1]
	v_mov_b32_e32 v21, v17
	v_mad_u64_u32 v[17:18], s[0:1], s21, v25, v[6:7]
	v_lshlrev_b64 v[11:12], 2, v[20:21]
	v_lshrrev_b32_e32 v94, 16, v7
	v_add_co_u32_e64 v44, s[0:1], v0, v11
	v_mov_b32_e32 v29, v17
	v_addc_co_u32_e64 v45, s[0:1], v5, v12, s[0:1]
	v_lshlrev_b64 v[11:12], 2, v[28:29]
	v_add_u32_e32 v17, 0x546, v22
	v_mad_u64_u32 v[28:29], s[0:1], s20, v17, 0
	v_add_co_u32_e64 v46, s[0:1], v0, v11
	v_addc_co_u32_e64 v47, s[0:1], v5, v12, s[0:1]
	v_mad_u64_u32 v[48:49], s[0:1], s20, v40, 0
	v_mov_b32_e32 v6, v29
	v_mad_u64_u32 v[29:30], s[0:1], s21, v17, v[6:7]
	v_mov_b32_e32 v6, v49
	global_load_dword v41, v[26:27], off
	global_load_dword v30, v[32:33], off
	;; [unrolled: 1-line block ×8, first 2 shown]
	v_mad_u64_u32 v[32:33], s[0:1], s21, v40, v[6:7]
	v_add_u32_e32 v26, 0x21c, v22
	v_mad_u64_u32 v[33:34], s[0:1], s20, v26, 0
	v_lshlrev_b64 v[27:28], 2, v[28:29]
	v_add_u32_e32 v29, 0x5a0, v22
	v_add_co_u32_e64 v35, s[0:1], v0, v27
	v_mov_b32_e32 v6, v34
	v_addc_co_u32_e64 v36, s[0:1], v5, v28, s[0:1]
	v_mad_u64_u32 v[37:38], s[0:1], s21, v26, v[6:7]
	v_mad_u64_u32 v[38:39], s[0:1], s20, v29, 0
	v_mov_b32_e32 v49, v32
	v_lshlrev_b64 v[27:28], 2, v[48:49]
	v_mov_b32_e32 v34, v37
	v_add_co_u32_e64 v48, s[0:1], v0, v27
	v_mov_b32_e32 v6, v39
	v_addc_co_u32_e64 v49, s[0:1], v5, v28, s[0:1]
	v_lshlrev_b64 v[27:28], 2, v[33:34]
	v_mad_u64_u32 v[32:33], s[0:1], s21, v29, v[6:7]
	v_add_u32_e32 v37, 0x924, v22
	v_mad_u64_u32 v[33:34], s[0:1], s20, v37, 0
	v_add_co_u32_e64 v50, s[0:1], v0, v27
	v_mov_b32_e32 v39, v32
	v_mov_b32_e32 v6, v34
	v_addc_co_u32_e64 v51, s[0:1], v5, v28, s[0:1]
	v_lshlrev_b64 v[28:29], 2, v[38:39]
	v_mad_u64_u32 v[37:38], s[0:1], s21, v37, v[6:7]
	v_add_u32_e32 v27, 0x276, v22
	v_mad_u64_u32 v[38:39], s[0:1], s20, v27, 0
	v_add_co_u32_e64 v52, s[0:1], v0, v28
	v_mov_b32_e32 v34, v37
	;; [unrolled: 8-line block ×4, first 2 shown]
	v_mov_b32_e32 v6, v39
	v_addc_co_u32_e64 v57, s[0:1], v5, v29, s[0:1]
	v_lshlrev_b64 v[28:29], 2, v[33:34]
	v_mad_u64_u32 v[32:33], s[0:1], s21, v32, v[6:7]
	v_add_co_u32_e64 v58, s[0:1], v0, v28
	v_mov_b32_e32 v39, v32
	v_add_u32_e32 v28, 0x2d0, v22
	v_addc_co_u32_e64 v59, s[0:1], v5, v29, s[0:1]
	v_lshlrev_b64 v[32:33], 2, v[38:39]
	v_mad_u64_u32 v[37:38], s[0:1], s20, v28, 0
	v_add_co_u32_e64 v39, s[0:1], v0, v32
	v_mov_b32_e32 v6, v38
	v_addc_co_u32_e64 v40, s[0:1], v5, v33, s[0:1]
	v_mad_u64_u32 v[60:61], s[0:1], s21, v28, v[6:7]
	v_add_u32_e32 v29, 0x654, v22
	v_mad_u64_u32 v[61:62], s[0:1], s20, v29, 0
	v_mov_b32_e32 v38, v60
	global_load_dword v47, v[35:36], off
	global_load_dword v46, v[48:49], off
	;; [unrolled: 1-line block ×8, first 2 shown]
	v_mov_b32_e32 v6, v62
	v_lshlrev_b64 v[34:35], 2, v[37:38]
	v_mad_u64_u32 v[36:37], s[0:1], s21, v29, v[6:7]
	v_add_u32_e32 v29, 0x9d8, v22
	v_mad_u64_u32 v[37:38], s[0:1], s20, v29, 0
	v_add_co_u32_e64 v39, s[0:1], v0, v34
	v_mov_b32_e32 v6, v38
	v_addc_co_u32_e64 v40, s[0:1], v5, v35, s[0:1]
	v_mad_u64_u32 v[48:49], s[0:1], s21, v29, v[6:7]
	v_add_u32_e32 v29, 0x32a, v22
	v_mad_u64_u32 v[49:50], s[0:1], s20, v29, 0
	v_mov_b32_e32 v62, v36
	v_lshlrev_b64 v[34:35], 2, v[61:62]
	v_mov_b32_e32 v38, v48
	v_add_co_u32_e64 v52, s[0:1], v0, v34
	v_mov_b32_e32 v6, v50
	v_addc_co_u32_e64 v53, s[0:1], v5, v35, s[0:1]
	v_lshlrev_b64 v[34:35], 2, v[37:38]
	v_mad_u64_u32 v[36:37], s[0:1], s21, v29, v[6:7]
	v_add_u32_e32 v48, 0x6ae, v22
	v_mad_u64_u32 v[37:38], s[0:1], s20, v48, 0
	v_add_co_u32_e64 v54, s[0:1], v0, v34
	v_mov_b32_e32 v50, v36
	v_mov_b32_e32 v6, v38
	v_addc_co_u32_e64 v55, s[0:1], v5, v35, s[0:1]
	v_lshlrev_b64 v[34:35], 2, v[49:50]
	v_mad_u64_u32 v[48:49], s[0:1], s21, v48, v[6:7]
	v_add_u32_e32 v36, 0xa32, v22
	v_mad_u64_u32 v[49:50], s[0:1], s20, v36, 0
	v_add_co_u32_e64 v56, s[0:1], v0, v34
	v_mov_b32_e32 v38, v48
	v_mov_b32_e32 v6, v50
	v_addc_co_u32_e64 v57, s[0:1], v5, v35, s[0:1]
	v_lshlrev_b64 v[34:35], 2, v[37:38]
	v_mad_u64_u32 v[36:37], s[0:1], s21, v36, v[6:7]
	v_add_co_u32_e64 v37, s[0:1], v0, v34
	v_mov_b32_e32 v50, v36
	v_addc_co_u32_e64 v38, s[0:1], v5, v35, s[0:1]
	v_lshlrev_b64 v[34:35], 2, v[49:50]
	v_lshrrev_b32_e32 v36, 16, v16
	v_add_co_u32_e64 v48, s[0:1], v0, v34
	v_addc_co_u32_e64 v49, s[0:1], v5, v35, s[0:1]
	global_load_dword v35, v[39:40], off
	global_load_dword v64, v[52:53], off
	global_load_dword v63, v[54:55], off
	global_load_dword v34, v[56:57], off
	global_load_dword v51, v[37:38], off
	global_load_dword v59, v[48:49], off
	v_lshrrev_b32_e32 v38, 16, v31
	v_lshrrev_b32_e32 v37, 16, v19
	s_waitcnt vmcnt(22)
	v_lshrrev_b32_e32 v93, 16, v13
	s_waitcnt vmcnt(21)
	;; [unrolled: 2-line block ×23, first 2 shown]
	v_lshrrev_b32_e32 v66, 16, v59
.LBB0_13:
	s_or_b64 exec, exec, s[6:7]
	v_add_f16_e32 v5, v16, v19
	v_fma_f16 v5, v5, -0.5, v31
	v_sub_f16_e32 v6, v37, v36
	s_mov_b32 s6, 0xbaee
	s_movk_i32 s7, 0x3aee
	v_add_f16_e32 v0, v19, v31
	v_fma_f16 v31, v6, s6, v5
	v_fma_f16 v5, v6, s7, v5
	v_add_f16_e32 v6, v37, v38
	v_add_f16_e32 v6, v36, v6
	;; [unrolled: 1-line block ×4, first 2 shown]
	v_fma_f16 v36, v36, -0.5, v38
	v_sub_f16_e32 v16, v19, v16
	v_fma_f16 v98, v16, s7, v36
	v_fma_f16 v99, v16, s6, v36
	v_add_f16_e32 v16, v14, v15
	v_fma_f16 v16, v16, -0.5, v8
	v_sub_f16_e32 v19, v96, v95
	v_fma_f16 v36, v19, s6, v16
	v_fma_f16 v16, v19, s7, v16
	v_add_f16_e32 v19, v41, v13
	;; [unrolled: 5-line block ×4, first 2 shown]
	v_mad_u32_u24 v100, v22, 6, 0
	v_fma_f16 v39, v39, -0.5, v12
	v_sub_f16_e32 v48, v86, v84
	ds_write_b16 v100, v0
	ds_write_b16 v100, v31 offset:2
	ds_write_b16 v100, v5 offset:4
	v_add_f16_e32 v0, v15, v8
	v_fma_f16 v49, v48, s6, v39
	v_fma_f16 v39, v48, s7, v39
	v_add_f16_e32 v48, v46, v47
	v_add_f16_e32 v0, v14, v0
	v_mad_i32_i24 v101, v10, 6, 0
	v_fma_f16 v48, v48, -0.5, v11
	v_sub_f16_e32 v50, v82, v81
	ds_write_b16 v101, v0
	ds_write_b16 v101, v36 offset:2
	ds_write_b16 v101, v16 offset:4
	v_add_f16_e32 v0, v13, v7
	v_fma_f16 v52, v50, s6, v48
	v_fma_f16 v48, v50, s7, v48
	v_add_f16_e32 v50, v44, v45
	v_add_f16_e32 v0, v41, v0
	v_mad_i32_i24 v102, v9, 6, 0
	;; [unrolled: 11-line block ×4, first 2 shown]
	v_fma_f16 v55, v55, -0.5, v35
	v_sub_f16_e32 v57, v70, v69
	ds_write_b16 v103, v5
	v_add_f16_e32 v5, v47, v11
	v_fma_f16 v58, v57, s6, v55
	v_fma_f16 v55, v57, s7, v55
	v_add_f16_e32 v57, v59, v51
	v_add_f16_e32 v5, v46, v5
	;; [unrolled: 1-line block ×4, first 2 shown]
	v_mad_i32_i24 v104, v25, 6, 0
	v_fma_f16 v57, v57, -0.5, v34
	v_sub_f16_e32 v60, v67, v66
	s_load_dwordx2 s[4:5], s[4:5], 0x0
	v_add_f16_e32 v7, v44, v7
	v_add_f16_e32 v8, v42, v8
	;; [unrolled: 1-line block ×4, first 2 shown]
	ds_write_b16 v103, v49 offset:2
	ds_write_b16 v103, v39 offset:4
	ds_write_b16 v104, v5
	ds_write_b16 v104, v52 offset:2
	ds_write_b16 v104, v48 offset:4
	v_mad_i32_i24 v31, v26, 6, 0
	v_mad_i32_i24 v105, v27, 6, 0
	;; [unrolled: 1-line block ×3, first 2 shown]
	v_lshlrev_b32_e32 v5, 1, v22
	v_lshlrev_b32_e32 v37, 2, v29
	v_fma_f16 v61, v60, s6, v57
	v_fma_f16 v57, v60, s7, v57
	v_add_f16_e32 v11, v63, v11
	v_add_f16_e32 v12, v59, v12
	ds_write_b16 v31, v7
	ds_write_b16 v31, v54 offset:2
	ds_write_b16 v31, v50 offset:4
	ds_write_b16 v105, v8
	ds_write_b16 v105, v56 offset:2
	ds_write_b16 v105, v53 offset:4
	v_mad_i32_i24 v106, v28, 6, 0
	v_add_u32_e32 v30, 0, v5
	v_lshlrev_b32_e32 v35, 2, v23
	v_lshlrev_b32_e32 v36, 2, v26
	v_sub_u32_e32 v39, v32, v37
	v_lshlrev_b32_e32 v8, 1, v10
	v_lshlrev_b32_e32 v7, 1, v9
	v_sub_f16_e32 v13, v13, v41
	v_sub_f16_e32 v41, v47, v46
	v_add_f16_e32 v47, v78, v79
	ds_write_b16 v106, v11
	ds_write_b16 v106, v58 offset:2
	ds_write_b16 v106, v55 offset:4
	ds_write_b16 v32, v12
	ds_write_b16 v32, v61 offset:2
	ds_write_b16 v32, v57 offset:4
	s_waitcnt lgkmcnt(0)
	s_barrier
	v_sub_u32_e32 v38, v0, v35
	v_sub_u32_e32 v40, v31, v36
	ds_read_u16 v107, v39
	v_add_u32_e32 v33, 0, v8
	ds_read_u16 v16, v30
	ds_read_u16 v48, v30 offset:720
	ds_read_u16 v52, v30 offset:2340
	;; [unrolled: 1-line block ×4, first 2 shown]
	v_add_u32_e32 v34, 0, v7
	ds_read_u16 v108, v30 offset:2160
	ds_read_u16 v54, v30 offset:1980
	;; [unrolled: 1-line block ×19, first 2 shown]
	ds_read_u16 v109, v40
	ds_read_u16 v113, v38
	;; [unrolled: 1-line block ×4, first 2 shown]
	ds_read_u16 v19, v30 offset:5220
	s_waitcnt lgkmcnt(0)
	s_barrier
	ds_write_b16 v100, v6
	ds_write_b16 v100, v98 offset:2
	ds_write_b16 v100, v99 offset:4
	v_add_f16_e32 v6, v96, v97
	v_fma_f16 v47, v47, -0.5, v80
	v_sub_f16_e32 v44, v45, v44
	v_add_f16_e32 v6, v95, v6
	v_add_f16_e32 v95, v95, v96
	v_fma_f16 v45, v44, s7, v47
	v_fma_f16 v44, v44, s6, v47
	v_add_f16_e32 v47, v74, v76
	v_fma_f16 v95, v95, -0.5, v97
	v_sub_f16_e32 v14, v15, v14
	v_add_f16_e32 v47, v72, v47
	v_add_f16_e32 v72, v72, v74
	v_fma_f16 v15, v14, s7, v95
	v_fma_f16 v14, v14, s6, v95
	v_fma_f16 v72, v72, -0.5, v76
	v_sub_f16_e32 v42, v43, v42
	ds_write_b16 v101, v6
	ds_write_b16 v101, v15 offset:2
	ds_write_b16 v101, v14 offset:4
	v_add_f16_e32 v14, v92, v93
	v_fma_f16 v43, v42, s7, v72
	v_fma_f16 v42, v42, s6, v72
	v_add_f16_e32 v72, v70, v71
	v_add_f16_e32 v6, v93, v94
	v_fma_f16 v14, v14, -0.5, v94
	v_add_f16_e32 v72, v69, v72
	v_add_f16_e32 v69, v69, v70
	;; [unrolled: 1-line block ×3, first 2 shown]
	v_fma_f16 v15, v13, s7, v14
	v_fma_f16 v13, v13, s6, v14
	v_fma_f16 v69, v69, -0.5, v71
	v_sub_f16_e32 v63, v64, v63
	ds_write_b16 v102, v6
	ds_write_b16 v102, v15 offset:2
	ds_write_b16 v102, v13 offset:4
	v_add_f16_e32 v13, v88, v90
	v_sub_f16_e32 v14, v21, v20
	v_add_f16_e32 v20, v84, v86
	v_add_f16_e32 v21, v81, v82
	v_fma_f16 v64, v63, s7, v69
	v_fma_f16 v63, v63, s6, v69
	v_add_f16_e32 v69, v67, v68
	v_add_f16_e32 v6, v90, v91
	v_fma_f16 v13, v13, -0.5, v91
	v_fma_f16 v20, v20, -0.5, v87
	v_sub_f16_e32 v17, v18, v17
	v_fma_f16 v21, v21, -0.5, v83
	v_add_f16_e32 v69, v66, v69
	v_add_f16_e32 v66, v66, v67
	v_add_f16_e32 v6, v88, v6
	v_fma_f16 v15, v14, s7, v13
	v_fma_f16 v13, v14, s6, v13
	v_add_f16_e32 v14, v86, v87
	v_fma_f16 v18, v17, s7, v20
	v_fma_f16 v17, v17, s6, v20
	v_add_f16_e32 v20, v82, v83
	;; [unrolled: 3-line block ×3, first 2 shown]
	v_fma_f16 v66, v66, -0.5, v68
	v_sub_f16_e32 v51, v51, v59
	s_movk_i32 s0, 0xab
	v_add_f16_e32 v14, v84, v14
	v_add_f16_e32 v20, v81, v20
	v_add_f16_e32 v41, v78, v41
	v_fma_f16 v59, v51, s7, v66
	v_fma_f16 v51, v51, s6, v66
	ds_write_b16 v0, v6
	ds_write_b16 v0, v15 offset:2
	ds_write_b16 v0, v13 offset:4
	ds_write_b16 v103, v14
	ds_write_b16 v103, v18 offset:2
	ds_write_b16 v103, v17 offset:4
	;; [unrolled: 3-line block ×7, first 2 shown]
	v_mul_lo_u16_sdwa v6, v22, s0 dst_sel:DWORD dst_unused:UNUSED_PAD src0_sel:BYTE_0 src1_sel:DWORD
	v_lshrrev_b16_e32 v14, 9, v6
	v_mul_lo_u16_e32 v6, 3, v14
	v_sub_u16_e32 v15, v22, v6
	v_mov_b32_e32 v6, 9
	v_mul_u32_u24_sdwa v13, v15, v6 dst_sel:DWORD dst_unused:UNUSED_PAD src0_sel:BYTE_0 src1_sel:DWORD
	v_lshlrev_b32_e32 v45, 2, v13
	s_waitcnt lgkmcnt(0)
	s_barrier
	global_load_dwordx4 v[41:44], v45, s[12:13]
	global_load_dwordx4 v[90:93], v45, s[12:13] offset:16
	v_mul_lo_u16_sdwa v13, v10, s0 dst_sel:DWORD dst_unused:UNUSED_PAD src0_sel:BYTE_0 src1_sel:DWORD
	v_lshrrev_b16_e32 v17, 9, v13
	v_mul_lo_u16_e32 v13, 3, v17
	v_sub_u16_e32 v18, v10, v13
	v_mul_u32_u24_sdwa v13, v18, v6 dst_sel:DWORD dst_unused:UNUSED_PAD src0_sel:BYTE_0 src1_sel:DWORD
	v_lshlrev_b32_e32 v20, 2, v13
	global_load_dwordx4 v[94:97], v20, s[12:13]
	ds_read_u16 v21, v40
	ds_read_u16 v46, v39
	ds_read_u16 v47, v30 offset:2700
	ds_read_u16 v63, v30 offset:2880
	ds_read_u16 v51, v38
	ds_read_u16 v13, v34
	ds_read_u16 v59, v30 offset:2160
	ds_read_u16 v114, v30 offset:1980
	global_load_dword v115, v20, s[12:13] offset:32
	global_load_dwordx4 v[98:101], v20, s[12:13] offset:16
	s_mov_b32 s0, 0xaaab
	s_mov_b32 s9, 0xbb9c
	;; [unrolled: 1-line block ×3, first 2 shown]
	s_movk_i32 s1, 0x38b4
	s_movk_i32 s14, 0x34f2
	;; [unrolled: 1-line block ×3, first 2 shown]
	s_mov_b32 s16, 0xb4f2
	s_mov_b32 s17, 0xba79
	v_mul_u32_u24_e32 v14, 60, v14
	s_movk_i32 s18, 0x89
	s_waitcnt vmcnt(4) lgkmcnt(3)
	v_mul_f16_sdwa v20, v51, v41 dst_sel:DWORD dst_unused:UNUSED_PAD src0_sel:DWORD src1_sel:WORD_1
	v_fma_f16 v67, v113, v41, v20
	v_mul_f16_sdwa v20, v113, v41 dst_sel:DWORD dst_unused:UNUSED_PAD src0_sel:DWORD src1_sel:WORD_1
	v_fma_f16 v66, v51, v41, -v20
	v_mul_f16_sdwa v20, v21, v42 dst_sel:DWORD dst_unused:UNUSED_PAD src0_sel:DWORD src1_sel:WORD_1
	v_fma_f16 v76, v109, v42, v20
	v_mul_f16_sdwa v20, v109, v42 dst_sel:DWORD dst_unused:UNUSED_PAD src0_sel:DWORD src1_sel:WORD_1
	v_fma_f16 v72, v21, v42, -v20
	v_mul_u32_u24_sdwa v20, v9, s0 dst_sel:DWORD dst_unused:UNUSED_PAD src0_sel:WORD_0 src1_sel:DWORD
	v_lshrrev_b32_e32 v20, 17, v20
	v_mul_lo_u16_e32 v21, 3, v20
	v_mul_f16_sdwa v42, v46, v43 dst_sel:DWORD dst_unused:UNUSED_PAD src0_sel:DWORD src1_sel:WORD_1
	v_sub_u16_e32 v21, v9, v21
	v_fma_f16 v70, v107, v43, v42
	v_mul_f16_sdwa v42, v107, v43 dst_sel:DWORD dst_unused:UNUSED_PAD src0_sel:DWORD src1_sel:WORD_1
	v_mul_u32_u24_e32 v41, 9, v21
	v_fma_f16 v68, v46, v43, -v42
	s_waitcnt lgkmcnt(1)
	v_mul_f16_sdwa v42, v59, v44 dst_sel:DWORD dst_unused:UNUSED_PAD src0_sel:DWORD src1_sel:WORD_1
	v_lshlrev_b32_e32 v41, 2, v41
	v_fma_f16 v80, v108, v44, v42
	v_mul_f16_sdwa v42, v108, v44 dst_sel:DWORD dst_unused:UNUSED_PAD src0_sel:DWORD src1_sel:WORD_1
	global_load_dwordx4 v[102:105], v41, s[12:13]
	v_fma_f16 v78, v59, v44, -v42
	ds_read_u16 v46, v30 offset:3600
	ds_read_u16 v42, v30 offset:3420
	;; [unrolled: 1-line block ×5, first 2 shown]
	s_waitcnt vmcnt(4)
	v_mul_f16_sdwa v51, v47, v90 dst_sel:DWORD dst_unused:UNUSED_PAD src0_sel:DWORD src1_sel:WORD_1
	v_fma_f16 v74, v111, v90, v51
	v_mul_f16_sdwa v51, v111, v90 dst_sel:DWORD dst_unused:UNUSED_PAD src0_sel:DWORD src1_sel:WORD_1
	v_fma_f16 v69, v47, v90, -v51
	s_waitcnt lgkmcnt(2)
	v_mul_f16_sdwa v47, v43, v91 dst_sel:DWORD dst_unused:UNUSED_PAD src0_sel:DWORD src1_sel:WORD_1
	v_fma_f16 v84, v110, v91, v47
	v_mul_f16_sdwa v47, v110, v91 dst_sel:DWORD dst_unused:UNUSED_PAD src0_sel:DWORD src1_sel:WORD_1
	global_load_dwordx4 v[106:109], v41, s[12:13] offset:16
	v_fma_f16 v79, v43, v91, -v47
	ds_read_u16 v110, v30 offset:4680
	ds_read_u16 v43, v30 offset:3780
	;; [unrolled: 1-line block ×8, first 2 shown]
	global_load_dword v118, v45, s[12:13] offset:32
	v_mul_f16_sdwa v45, v85, v92 dst_sel:DWORD dst_unused:UNUSED_PAD src0_sel:DWORD src1_sel:WORD_1
	s_waitcnt lgkmcnt(6)
	v_mul_f16_sdwa v59, v43, v92 dst_sel:DWORD dst_unused:UNUSED_PAD src0_sel:DWORD src1_sel:WORD_1
	v_fma_f16 v82, v43, v92, -v45
	s_waitcnt lgkmcnt(0)
	v_mul_f16_sdwa v43, v51, v93 dst_sel:DWORD dst_unused:UNUSED_PAD src0_sel:DWORD src1_sel:WORD_1
	v_fma_f16 v90, v112, v93, v43
	v_mul_f16_sdwa v43, v112, v93 dst_sel:DWORD dst_unused:UNUSED_PAD src0_sel:DWORD src1_sel:WORD_1
	v_fma_f16 v88, v51, v93, -v43
	ds_read_u16 v43, v30 offset:720
	ds_read_u16 v93, v30 offset:900
	global_load_dword v91, v41, s[12:13] offset:32
	v_fma_f16 v87, v85, v92, v59
	ds_read_u16 v41, v30 offset:1800
	ds_read_u16 v112, v30 offset:1440
	;; [unrolled: 1-line block ×3, first 2 shown]
	ds_read_u16 v92, v30
	s_waitcnt vmcnt(6) lgkmcnt(5)
	v_mul_f16_sdwa v45, v43, v94 dst_sel:DWORD dst_unused:UNUSED_PAD src0_sel:DWORD src1_sel:WORD_1
	v_fma_f16 v81, v48, v94, v45
	v_mul_f16_sdwa v45, v48, v94 dst_sel:DWORD dst_unused:UNUSED_PAD src0_sel:DWORD src1_sel:WORD_1
	v_fma_f16 v45, v43, v94, -v45
	s_waitcnt lgkmcnt(1)
	v_mul_f16_sdwa v43, v51, v95 dst_sel:DWORD dst_unused:UNUSED_PAD src0_sel:DWORD src1_sel:WORD_1
	v_fma_f16 v59, v62, v95, v43
	v_mul_f16_sdwa v43, v62, v95 dst_sel:DWORD dst_unused:UNUSED_PAD src0_sel:DWORD src1_sel:WORD_1
	v_fma_f16 v51, v51, v95, -v43
	ds_read_u16 v43, v30 offset:2340
	ds_read_u16 v95, v30 offset:5220
	v_mul_f16_sdwa v48, v41, v96 dst_sel:DWORD dst_unused:UNUSED_PAD src0_sel:DWORD src1_sel:WORD_1
	v_fma_f16 v83, v56, v96, v48
	v_mul_f16_sdwa v48, v56, v96 dst_sel:DWORD dst_unused:UNUSED_PAD src0_sel:DWORD src1_sel:WORD_1
	v_fma_f16 v48, v41, v96, -v48
	s_waitcnt lgkmcnt(1)
	v_mul_f16_sdwa v41, v43, v97 dst_sel:DWORD dst_unused:UNUSED_PAD src0_sel:DWORD src1_sel:WORD_1
	v_fma_f16 v62, v52, v97, v41
	v_mul_f16_sdwa v41, v52, v97 dst_sel:DWORD dst_unused:UNUSED_PAD src0_sel:DWORD src1_sel:WORD_1
	v_fma_f16 v56, v43, v97, -v41
	s_waitcnt vmcnt(4)
	v_mul_f16_sdwa v41, v63, v98 dst_sel:DWORD dst_unused:UNUSED_PAD src0_sel:DWORD src1_sel:WORD_1
	v_fma_f16 v85, v58, v98, v41
	v_mul_f16_sdwa v41, v58, v98 dst_sel:DWORD dst_unused:UNUSED_PAD src0_sel:DWORD src1_sel:WORD_1
	v_fma_f16 v52, v63, v98, -v41
	v_mul_f16_sdwa v41, v42, v99 dst_sel:DWORD dst_unused:UNUSED_PAD src0_sel:DWORD src1_sel:WORD_1
	v_fma_f16 v63, v55, v99, v41
	v_mul_f16_sdwa v41, v55, v99 dst_sel:DWORD dst_unused:UNUSED_PAD src0_sel:DWORD src1_sel:WORD_1
	v_fma_f16 v58, v42, v99, -v41
	v_mul_f16_sdwa v41, v47, v100 dst_sel:DWORD dst_unused:UNUSED_PAD src0_sel:DWORD src1_sel:WORD_1
	v_fma_f16 v86, v50, v100, v41
	v_mul_f16_sdwa v41, v50, v100 dst_sel:DWORD dst_unused:UNUSED_PAD src0_sel:DWORD src1_sel:WORD_1
	s_movk_i32 s0, 0x3b9c
	v_fma_f16 v55, v47, v100, -v41
	v_mul_f16_sdwa v41, v71, v101 dst_sel:DWORD dst_unused:UNUSED_PAD src0_sel:DWORD src1_sel:WORD_1
	v_sub_f16_e32 v100, v78, v79
	v_fma_f16 v64, v60, v101, v41
	v_mul_f16_sdwa v41, v60, v101 dst_sel:DWORD dst_unused:UNUSED_PAD src0_sel:DWORD src1_sel:WORD_1
	v_fma_f16 v60, v71, v101, -v41
	v_sub_f16_e32 v101, v84, v90
	ds_read_u16 v98, v33
	s_waitcnt vmcnt(0) lgkmcnt(0)
	s_barrier
	v_mul_f16_sdwa v41, v93, v102 dst_sel:DWORD dst_unused:UNUSED_PAD src0_sel:DWORD src1_sel:WORD_1
	v_fma_f16 v71, v77, v102, v41
	v_mul_f16_sdwa v41, v77, v102 dst_sel:DWORD dst_unused:UNUSED_PAD src0_sel:DWORD src1_sel:WORD_1
	v_fma_f16 v41, v93, v102, -v41
	v_mul_f16_sdwa v42, v112, v103 dst_sel:DWORD dst_unused:UNUSED_PAD src0_sel:DWORD src1_sel:WORD_1
	v_fma_f16 v50, v73, v103, v42
	v_mul_f16_sdwa v42, v73, v103 dst_sel:DWORD dst_unused:UNUSED_PAD src0_sel:DWORD src1_sel:WORD_1
	v_fma_f16 v43, v112, v103, -v42
	;; [unrolled: 4-line block ×3, first 2 shown]
	v_mul_f16_sdwa v47, v113, v105 dst_sel:DWORD dst_unused:UNUSED_PAD src0_sel:DWORD src1_sel:WORD_1
	v_mul_f16_sdwa v93, v117, v118 dst_sel:DWORD dst_unused:UNUSED_PAD src0_sel:DWORD src1_sel:WORD_1
	v_fma_f16 v94, v89, v118, v93
	v_mul_f16_sdwa v89, v89, v118 dst_sel:DWORD dst_unused:UNUSED_PAD src0_sel:DWORD src1_sel:WORD_1
	v_fma_f16 v93, v117, v118, -v89
	v_mul_f16_sdwa v89, v116, v115 dst_sel:DWORD dst_unused:UNUSED_PAD src0_sel:DWORD src1_sel:WORD_1
	v_fma_f16 v89, v65, v115, v89
	v_mul_f16_sdwa v65, v65, v115 dst_sel:DWORD dst_unused:UNUSED_PAD src0_sel:DWORD src1_sel:WORD_1
	v_fma_f16 v65, v116, v115, -v65
	v_fma_f16 v54, v75, v105, v47
	v_mul_f16_sdwa v96, v95, v91 dst_sel:DWORD dst_unused:UNUSED_PAD src0_sel:DWORD src1_sel:WORD_1
	v_fma_f16 v96, v19, v91, v96
	v_mul_f16_sdwa v19, v19, v91 dst_sel:DWORD dst_unused:UNUSED_PAD src0_sel:DWORD src1_sel:WORD_1
	v_fma_f16 v97, v95, v91, -v19
	v_sub_f16_e32 v19, v76, v80
	v_sub_f16_e32 v91, v90, v84
	v_add_f16_e32 v19, v19, v91
	v_add_f16_e32 v91, v80, v84
	v_fma_f16 v91, v91, -0.5, v16
	v_sub_f16_e32 v95, v72, v88
	v_fma_f16 v99, v95, s9, v91
	v_fma_f16 v91, v95, s0, v91
	;; [unrolled: 1-line block ×6, first 2 shown]
	v_sub_f16_e32 v91, v80, v76
	v_add_f16_e32 v91, v91, v101
	v_add_f16_e32 v101, v76, v90
	v_fma_f16 v101, v101, -0.5, v16
	v_add_f16_e32 v16, v16, v76
	v_add_f16_e32 v16, v16, v80
	;; [unrolled: 1-line block ×4, first 2 shown]
	v_sub_f16_e32 v76, v76, v90
	v_sub_f16_e32 v80, v80, v84
	;; [unrolled: 1-line block ×4, first 2 shown]
	v_fma_f16 v102, v100, s0, v101
	v_fma_f16 v100, v100, s9, v101
	v_add_f16_e32 v84, v84, v90
	v_add_f16_e32 v90, v78, v79
	v_fma_f16 v101, v95, s8, v102
	v_fma_f16 v95, v95, s1, v100
	v_fma_f16 v90, v90, -0.5, v92
	v_fma_f16 v100, v91, s14, v101
	v_fma_f16 v91, v91, s14, v95
	;; [unrolled: 1-line block ×8, first 2 shown]
	v_add_f16_e32 v90, v72, v88
	v_fma_f16 v90, v90, -0.5, v92
	v_add_f16_e32 v92, v92, v72
	v_add_f16_e32 v92, v92, v78
	v_sub_f16_e32 v72, v78, v72
	v_add_f16_e32 v78, v92, v79
	v_sub_f16_e32 v79, v79, v88
	v_add_f16_e32 v72, v72, v79
	v_fma_f16 v79, v80, s9, v90
	v_fma_f16 v80, v80, s0, v90
	;; [unrolled: 1-line block ×6, first 2 shown]
	v_sub_f16_e32 v76, v70, v74
	v_sub_f16_e32 v80, v94, v87
	v_add_f16_e32 v76, v76, v80
	v_add_f16_e32 v80, v74, v87
	;; [unrolled: 1-line block ×3, first 2 shown]
	v_fma_f16 v80, v80, -0.5, v67
	v_sub_f16_e32 v88, v68, v93
	v_fma_f16 v90, v88, s9, v80
	v_sub_f16_e32 v92, v69, v82
	v_fma_f16 v80, v88, s0, v80
	v_fma_f16 v90, v92, s8, v90
	;; [unrolled: 1-line block ×5, first 2 shown]
	v_sub_f16_e32 v80, v74, v70
	v_sub_f16_e32 v101, v87, v94
	v_add_f16_e32 v80, v80, v101
	v_add_f16_e32 v101, v70, v94
	v_fma_f16 v101, v101, -0.5, v67
	v_fma_f16 v102, v92, s0, v101
	v_fma_f16 v92, v92, s9, v101
	v_add_f16_e32 v67, v67, v70
	v_fma_f16 v101, v88, s8, v102
	v_fma_f16 v88, v88, s1, v92
	v_add_f16_e32 v67, v67, v74
	;; [unrolled: 3-line block ×3, first 2 shown]
	v_sub_f16_e32 v74, v74, v87
	v_sub_f16_e32 v87, v68, v69
	;; [unrolled: 1-line block ×3, first 2 shown]
	v_add_f16_e32 v87, v87, v88
	v_add_f16_e32 v88, v69, v82
	v_sub_f16_e32 v70, v70, v94
	v_fma_f16 v88, v88, -0.5, v66
	v_add_f16_e32 v67, v67, v94
	v_fma_f16 v94, v70, s0, v88
	v_fma_f16 v88, v70, s9, v88
	;; [unrolled: 1-line block ×6, first 2 shown]
	v_add_f16_e32 v88, v68, v93
	v_fma_f16 v88, v88, -0.5, v66
	v_add_f16_e32 v66, v66, v68
	v_add_f16_e32 v66, v66, v69
	v_sub_f16_e32 v68, v69, v68
	v_sub_f16_e32 v69, v82, v93
	v_add_f16_e32 v68, v68, v69
	v_fma_f16 v69, v74, s9, v88
	v_fma_f16 v74, v74, s0, v88
	;; [unrolled: 1-line block ×6, first 2 shown]
	v_add_f16_e32 v66, v66, v82
	v_mul_f16_e32 v70, 0xb8b4, v94
	v_mul_f16_e32 v82, 0xbb9c, v69
	;; [unrolled: 1-line block ×5, first 2 shown]
	v_add_f16_e32 v66, v66, v93
	v_fma_f16 v70, v90, s15, v70
	v_fma_f16 v69, v92, s0, v69
	;; [unrolled: 1-line block ×4, first 2 shown]
	v_mul_f16_e32 v80, 0xb8b4, v87
	v_mul_f16_e32 v87, 0xba79, v87
	v_fma_f16 v80, v76, s17, v80
	v_fma_f16 v76, v76, s1, v87
	v_add_f16_e32 v87, v16, v67
	v_sub_f16_e32 v16, v16, v67
	v_add_f16_e32 v67, v99, v70
	v_sub_f16_e32 v70, v99, v70
	;; [unrolled: 2-line block ×5, first 2 shown]
	v_sub_f16_e32 v66, v59, v62
	v_sub_f16_e32 v68, v64, v63
	v_mul_f16_e32 v74, 0x3a79, v94
	v_add_f16_e32 v66, v66, v68
	v_add_f16_e32 v68, v62, v63
	v_fma_f16 v74, v90, s1, v74
	v_fma_f16 v82, v92, s14, v82
	v_fma_f16 v68, v68, -0.5, v12
	v_sub_f16_e32 v72, v51, v60
	v_add_f16_e32 v90, v100, v82
	v_sub_f16_e32 v82, v100, v82
	v_add_f16_e32 v92, v91, v88
	;; [unrolled: 2-line block ×4, first 2 shown]
	v_sub_f16_e32 v101, v95, v74
	v_fma_f16 v74, v72, s9, v68
	v_sub_f16_e32 v80, v56, v58
	v_fma_f16 v68, v72, s0, v68
	v_fma_f16 v74, v80, s8, v74
	;; [unrolled: 1-line block ×3, first 2 shown]
	v_add_f16_e32 v104, v84, v76
	v_sub_f16_e32 v76, v84, v76
	v_fma_f16 v74, v66, s14, v74
	v_fma_f16 v66, v66, s14, v68
	v_sub_f16_e32 v68, v62, v59
	v_sub_f16_e32 v84, v63, v64
	v_add_f16_e32 v68, v68, v84
	v_add_f16_e32 v84, v59, v64
	v_fma_f16 v84, v84, -0.5, v12
	v_fma_f16 v93, v80, s0, v84
	v_fma_f16 v80, v80, s9, v84
	;; [unrolled: 1-line block ×6, first 2 shown]
	v_sub_f16_e32 v72, v83, v85
	v_sub_f16_e32 v84, v89, v86
	v_add_f16_e32 v72, v72, v84
	v_add_f16_e32 v84, v85, v86
	v_fma_f16 v84, v84, -0.5, v81
	v_sub_f16_e32 v93, v48, v65
	v_mul_f16_sdwa v47, v75, v105 dst_sel:DWORD dst_unused:UNUSED_PAD src0_sel:DWORD src1_sel:WORD_1
	v_mul_f16_sdwa v75, v44, v106 dst_sel:DWORD dst_unused:UNUSED_PAD src0_sel:DWORD src1_sel:WORD_1
	v_fma_f16 v94, v93, s9, v84
	v_sub_f16_e32 v95, v52, v55
	v_fma_f16 v84, v93, s0, v84
	v_fma_f16 v75, v57, v106, v75
	v_mul_f16_sdwa v57, v57, v106 dst_sel:DWORD dst_unused:UNUSED_PAD src0_sel:DWORD src1_sel:WORD_1
	v_fma_f16 v94, v95, s8, v94
	v_fma_f16 v84, v95, s1, v84
	v_fma_f16 v47, v113, v105, -v47
	v_fma_f16 v44, v44, v106, -v57
	v_fma_f16 v105, v72, s14, v94
	v_fma_f16 v106, v72, s14, v84
	v_sub_f16_e32 v72, v85, v83
	v_sub_f16_e32 v84, v86, v89
	v_mul_f16_sdwa v57, v46, v107 dst_sel:DWORD dst_unused:UNUSED_PAD src0_sel:DWORD src1_sel:WORD_1
	v_add_f16_e32 v72, v72, v84
	v_add_f16_e32 v84, v83, v89
	v_fma_f16 v57, v49, v107, v57
	v_mul_f16_sdwa v49, v49, v107 dst_sel:DWORD dst_unused:UNUSED_PAD src0_sel:DWORD src1_sel:WORD_1
	v_fma_f16 v84, v84, -0.5, v81
	v_fma_f16 v49, v46, v107, -v49
	v_mul_f16_sdwa v46, v111, v108 dst_sel:DWORD dst_unused:UNUSED_PAD src0_sel:DWORD src1_sel:WORD_1
	v_fma_f16 v94, v95, s0, v84
	v_fma_f16 v84, v95, s9, v84
	;; [unrolled: 1-line block ×3, first 2 shown]
	v_mul_f16_sdwa v46, v61, v108 dst_sel:DWORD dst_unused:UNUSED_PAD src0_sel:DWORD src1_sel:WORD_1
	v_fma_f16 v94, v93, s8, v94
	v_fma_f16 v84, v93, s1, v84
	v_fma_f16 v46, v111, v108, -v46
	v_fma_f16 v107, v72, s14, v94
	v_fma_f16 v108, v72, s14, v84
	v_add_f16_e32 v72, v81, v83
	v_add_f16_e32 v72, v72, v85
	v_sub_f16_e32 v81, v83, v89
	v_sub_f16_e32 v83, v85, v86
	;; [unrolled: 1-line block ×4, first 2 shown]
	v_add_f16_e32 v84, v84, v85
	v_add_f16_e32 v85, v52, v55
	v_fma_f16 v85, v85, -0.5, v45
	v_add_f16_e32 v72, v72, v86
	v_fma_f16 v86, v81, s0, v85
	v_fma_f16 v85, v81, s9, v85
	v_fma_f16 v86, v83, s1, v86
	v_fma_f16 v85, v83, s8, v85
	v_add_f16_e32 v72, v72, v89
	v_fma_f16 v89, v84, s14, v86
	v_fma_f16 v85, v84, s14, v85
	v_sub_f16_e32 v84, v52, v48
	v_sub_f16_e32 v86, v55, v65
	v_add_f16_e32 v12, v12, v59
	v_add_f16_e32 v84, v84, v86
	;; [unrolled: 1-line block ×4, first 2 shown]
	v_fma_f16 v86, v86, -0.5, v45
	v_add_f16_e32 v12, v12, v63
	v_mul_f16_sdwa v61, v110, v109 dst_sel:DWORD dst_unused:UNUSED_PAD src0_sel:DWORD src1_sel:WORD_1
	v_fma_f16 v93, v83, s9, v86
	v_fma_f16 v83, v83, s0, v86
	v_add_f16_e32 v12, v12, v64
	v_fma_f16 v61, v53, v109, v61
	v_mul_f16_sdwa v53, v53, v109 dst_sel:DWORD dst_unused:UNUSED_PAD src0_sel:DWORD src1_sel:WORD_1
	v_fma_f16 v86, v81, s1, v93
	v_fma_f16 v81, v81, s8, v83
	v_add_f16_e32 v83, v12, v72
	v_sub_f16_e32 v12, v12, v72
	v_mul_f16_e32 v72, 0xb8b4, v89
	v_fma_f16 v53, v110, v109, -v53
	v_fma_f16 v109, v84, s14, v86
	v_fma_f16 v72, v105, s15, v72
	;; [unrolled: 1-line block ×3, first 2 shown]
	v_add_f16_e32 v84, v74, v72
	v_sub_f16_e32 v72, v74, v72
	v_mul_f16_e32 v74, 0xbb9c, v109
	v_fma_f16 v74, v107, s14, v74
	v_add_f16_e32 v86, v80, v74
	v_sub_f16_e32 v74, v80, v74
	v_mul_f16_e32 v80, 0xbb9c, v81
	v_fma_f16 v80, v108, s16, v80
	;; [unrolled: 4-line block ×3, first 2 shown]
	v_add_f16_e32 v94, v66, v80
	v_sub_f16_e32 v66, v66, v80
	v_sub_f16_e32 v80, v50, v54
	v_sub_f16_e32 v95, v61, v57
	v_add_f16_e32 v80, v80, v95
	v_add_f16_e32 v95, v54, v57
	v_fma_f16 v95, v95, -0.5, v11
	v_sub_f16_e32 v110, v43, v53
	v_fma_f16 v111, v110, s9, v95
	v_sub_f16_e32 v112, v47, v49
	v_fma_f16 v95, v110, s0, v95
	v_fma_f16 v111, v112, s8, v111
	;; [unrolled: 1-line block ×5, first 2 shown]
	v_sub_f16_e32 v95, v54, v50
	v_sub_f16_e32 v113, v57, v61
	v_add_f16_e32 v95, v95, v113
	v_add_f16_e32 v113, v50, v61
	v_fma_f16 v113, v113, -0.5, v11
	v_fma_f16 v114, v112, s0, v113
	v_fma_f16 v112, v112, s9, v113
	;; [unrolled: 1-line block ×6, first 2 shown]
	v_sub_f16_e32 v110, v73, v75
	v_sub_f16_e32 v113, v96, v77
	v_add_f16_e32 v110, v110, v113
	v_add_f16_e32 v113, v75, v77
	v_fma_f16 v113, v113, -0.5, v71
	v_sub_f16_e32 v114, v42, v97
	v_fma_f16 v115, v114, s9, v113
	v_sub_f16_e32 v116, v44, v46
	v_fma_f16 v113, v114, s0, v113
	v_fma_f16 v115, v116, s8, v115
	;; [unrolled: 1-line block ×5, first 2 shown]
	v_sub_f16_e32 v113, v75, v73
	v_sub_f16_e32 v117, v77, v96
	v_add_f16_e32 v113, v113, v117
	v_add_f16_e32 v117, v73, v96
	v_fma_f16 v117, v117, -0.5, v71
	v_add_f16_e32 v71, v71, v73
	v_add_f16_e32 v71, v71, v75
	v_add_f16_e32 v71, v71, v77
	v_add_f16_e32 v71, v71, v96
	v_sub_f16_e32 v73, v73, v96
	v_sub_f16_e32 v75, v75, v77
	;; [unrolled: 1-line block ×4, first 2 shown]
	v_fma_f16 v118, v116, s0, v117
	v_fma_f16 v116, v116, s9, v117
	v_add_f16_e32 v77, v77, v96
	v_add_f16_e32 v96, v44, v46
	v_fma_f16 v117, v114, s8, v118
	v_fma_f16 v114, v114, s1, v116
	v_fma_f16 v96, v96, -0.5, v41
	v_fma_f16 v116, v113, s14, v117
	v_fma_f16 v113, v113, s14, v114
	;; [unrolled: 1-line block ×8, first 2 shown]
	v_sub_f16_e32 v96, v44, v42
	v_sub_f16_e32 v117, v46, v97
	v_add_f16_e32 v96, v96, v117
	v_add_f16_e32 v117, v42, v97
	;; [unrolled: 1-line block ×3, first 2 shown]
	v_fma_f16 v117, v117, -0.5, v41
	v_add_f16_e32 v11, v11, v54
	v_fma_f16 v118, v75, s9, v117
	v_fma_f16 v75, v75, s0, v117
	v_add_f16_e32 v11, v11, v57
	v_fma_f16 v117, v73, s1, v118
	v_fma_f16 v73, v73, s8, v75
	;; [unrolled: 3-line block ×3, first 2 shown]
	v_add_f16_e32 v96, v11, v71
	v_sub_f16_e32 v71, v11, v71
	v_mul_f16_e32 v11, 0xb8b4, v114
	v_fma_f16 v11, v115, s15, v11
	v_add_f16_e32 v117, v111, v11
	v_sub_f16_e32 v111, v111, v11
	v_mul_f16_e32 v11, 0xbb9c, v75
	v_fma_f16 v11, v116, s14, v11
	;; [unrolled: 4-line block ×4, first 2 shown]
	v_add_f16_e32 v120, v80, v11
	v_sub_f16_e32 v80, v80, v11
	v_mov_b32_e32 v11, 1
	v_lshlrev_b32_sdwa v15, v11, v15 dst_sel:DWORD dst_unused:UNUSED_PAD src0_sel:DWORD src1_sel:BYTE_0
	v_add3_u32 v15, 0, v14, v15
	ds_write_b16 v15, v87
	ds_write_b16 v15, v67 offset:6
	ds_write_b16 v15, v90 offset:12
	ds_write_b16 v15, v92 offset:18
	ds_write_b16 v15, v91 offset:24
	ds_write_b16 v15, v16 offset:30
	ds_write_b16 v15, v70 offset:36
	ds_write_b16 v15, v82 offset:42
	ds_write_b16 v15, v88 offset:48
	ds_write_b16 v15, v19 offset:54
	v_mul_u32_u24_e32 v14, 60, v17
	v_lshlrev_b32_sdwa v16, v11, v18 dst_sel:DWORD dst_unused:UNUSED_PAD src0_sel:DWORD src1_sel:BYTE_0
	v_add3_u32 v16, 0, v14, v16
	ds_write_b16 v16, v83
	ds_write_b16 v16, v84 offset:6
	ds_write_b16 v16, v86 offset:12
	;; [unrolled: 1-line block ×9, first 2 shown]
	v_mul_u32_u24_e32 v12, 60, v20
	v_lshlrev_b32_e32 v14, 1, v21
	v_add3_u32 v18, 0, v12, v14
	ds_write_b16 v18, v96
	ds_write_b16 v18, v117 offset:6
	ds_write_b16 v18, v118 offset:12
	;; [unrolled: 1-line block ×9, first 2 shown]
	s_waitcnt lgkmcnt(0)
	s_barrier
	ds_read_u16 v82, v39
	ds_read_u16 v17, v30
	ds_read_u16 v68, v30 offset:720
	ds_read_u16 v66, v30 offset:2340
	;; [unrolled: 1-line block ×23, first 2 shown]
	ds_read_u16 v71, v40
	ds_read_u16 v117, v38
	;; [unrolled: 1-line block ×4, first 2 shown]
	ds_read_u16 v19, v30 offset:5220
	s_waitcnt lgkmcnt(0)
	s_barrier
	ds_write_b16 v15, v99
	ds_write_b16 v15, v100 offset:6
	ds_write_b16 v15, v102 offset:12
	;; [unrolled: 1-line block ×9, first 2 shown]
	v_sub_f16_e32 v15, v59, v64
	v_sub_f16_e32 v59, v62, v63
	;; [unrolled: 1-line block ×4, first 2 shown]
	v_add_f16_e32 v62, v62, v63
	v_add_f16_e32 v63, v56, v58
	v_fma_f16 v63, v63, -0.5, v98
	v_fma_f16 v64, v15, s0, v63
	v_fma_f16 v63, v15, s9, v63
	;; [unrolled: 1-line block ×4, first 2 shown]
	v_add_f16_e32 v69, v98, v51
	v_fma_f16 v64, v62, s14, v64
	v_fma_f16 v62, v62, s14, v63
	v_add_f16_e32 v63, v51, v60
	v_add_f16_e32 v69, v69, v56
	v_fma_f16 v63, v63, -0.5, v98
	v_sub_f16_e32 v51, v56, v51
	v_add_f16_e32 v56, v69, v58
	v_sub_f16_e32 v58, v58, v60
	v_add_f16_e32 v51, v51, v58
	v_fma_f16 v58, v59, s9, v63
	v_fma_f16 v59, v59, s0, v63
	v_add_f16_e32 v45, v45, v48
	v_fma_f16 v58, v15, s1, v58
	v_fma_f16 v15, v15, s8, v59
	v_add_f16_e32 v45, v45, v52
	v_sub_f16_e32 v50, v50, v61
	v_sub_f16_e32 v54, v54, v57
	;; [unrolled: 1-line block ×4, first 2 shown]
	v_fma_f16 v58, v51, s14, v58
	v_fma_f16 v15, v51, s14, v15
	v_add_f16_e32 v45, v45, v55
	v_mul_f16_e32 v51, 0x34f2, v109
	v_mul_f16_e32 v52, 0xb4f2, v81
	;; [unrolled: 1-line block ×3, first 2 shown]
	v_add_f16_e32 v57, v57, v61
	v_add_f16_e32 v61, v47, v49
	v_fma_f16 v51, v107, s0, v51
	v_fma_f16 v52, v108, s0, v52
	;; [unrolled: 1-line block ×3, first 2 shown]
	v_fma_f16 v61, v61, -0.5, v13
	v_add_f16_e32 v56, v56, v60
	v_add_f16_e32 v60, v58, v51
	v_sub_f16_e32 v51, v58, v51
	v_add_f16_e32 v58, v15, v52
	v_sub_f16_e32 v15, v15, v52
	;; [unrolled: 2-line block ×3, first 2 shown]
	v_fma_f16 v62, v50, s0, v61
	v_fma_f16 v61, v50, s9, v61
	;; [unrolled: 1-line block ×6, first 2 shown]
	v_add_f16_e32 v61, v43, v53
	v_fma_f16 v61, v61, -0.5, v13
	v_add_f16_e32 v13, v13, v43
	v_add_f16_e32 v13, v13, v47
	v_sub_f16_e32 v43, v47, v43
	v_sub_f16_e32 v47, v49, v53
	v_add_f16_e32 v41, v41, v42
	v_add_f16_e32 v13, v13, v49
	v_add_f16_e32 v43, v43, v47
	v_fma_f16 v47, v54, s9, v61
	v_fma_f16 v49, v54, s0, v61
	v_add_f16_e32 v41, v41, v44
	v_fma_f16 v47, v50, s1, v47
	v_fma_f16 v49, v50, s8, v49
	v_add_f16_e32 v41, v41, v46
	v_add_f16_e32 v45, v45, v65
	v_mul_f16_e32 v48, 0x3a79, v89
	v_add_f16_e32 v13, v13, v53
	v_fma_f16 v47, v43, s14, v47
	v_fma_f16 v43, v43, s14, v49
	v_add_f16_e32 v41, v41, v97
	v_mul_f16_e32 v42, 0x3a79, v114
	v_mul_f16_e32 v44, 0x34f2, v75
	;; [unrolled: 1-line block ×4, first 2 shown]
	v_fma_f16 v48, v105, s1, v48
	v_add_f16_e32 v59, v56, v45
	v_fma_f16 v42, v115, s1, v42
	v_fma_f16 v44, v116, s0, v44
	;; [unrolled: 1-line block ×4, first 2 shown]
	v_add_f16_e32 v50, v13, v41
	v_sub_f16_e32 v13, v13, v41
	v_sub_f16_e32 v45, v56, v45
	v_add_f16_e32 v56, v64, v48
	v_sub_f16_e32 v48, v64, v48
	v_add_f16_e32 v41, v62, v42
	;; [unrolled: 2-line block ×5, first 2 shown]
	v_sub_f16_e32 v49, v57, v49
	ds_write_b16 v16, v59
	ds_write_b16 v16, v56 offset:6
	ds_write_b16 v16, v60 offset:12
	;; [unrolled: 1-line block ×9, first 2 shown]
	ds_write_b16 v18, v50
	ds_write_b16 v18, v41 offset:6
	ds_write_b16 v18, v53 offset:12
	;; [unrolled: 1-line block ×9, first 2 shown]
	v_mul_lo_u16_sdwa v13, v22, s18 dst_sel:DWORD dst_unused:UNUSED_PAD src0_sel:BYTE_0 src1_sel:DWORD
	v_lshrrev_b16_e32 v13, 12, v13
	v_mul_lo_u16_e32 v15, 30, v13
	v_sub_u16_e32 v15, v22, v15
	v_mul_u32_u24_sdwa v16, v15, v6 dst_sel:DWORD dst_unused:UNUSED_PAD src0_sel:BYTE_0 src1_sel:DWORD
	v_lshlrev_b32_e32 v50, 2, v16
	s_waitcnt lgkmcnt(0)
	s_barrier
	global_load_dwordx4 v[42:45], v50, s[12:13] offset:108
	global_load_dwordx4 v[46:49], v50, s[12:13] offset:124
	v_mul_lo_u16_sdwa v16, v10, s18 dst_sel:DWORD dst_unused:UNUSED_PAD src0_sel:BYTE_0 src1_sel:DWORD
	v_lshrrev_b16_e32 v16, 12, v16
	v_mul_lo_u16_e32 v18, 30, v16
	v_sub_u16_e32 v10, v10, v18
	v_mul_u32_u24_sdwa v6, v10, v6 dst_sel:DWORD dst_unused:UNUSED_PAD src0_sel:BYTE_0 src1_sel:DWORD
	v_lshlrev_b32_e32 v18, 2, v6
	global_load_dwordx4 v[52:55], v18, s[12:13] offset:108
	ds_read_u16 v51, v38
	ds_read_u16 v56, v40
	;; [unrolled: 1-line block ×4, first 2 shown]
	ds_read_u16 v58, v30 offset:2160
	ds_read_u16 v59, v30 offset:1980
	global_load_dword v109, v18, s[12:13] offset:140
	global_load_dwordx4 v[97:100], v18, s[12:13] offset:124
	s_mov_b32 s18, 0x8889
	v_mul_u32_u24_e32 v13, 0x258, v13
	v_lshlrev_b32_sdwa v15, v11, v15 dst_sel:DWORD dst_unused:UNUSED_PAD src0_sel:DWORD src1_sel:BYTE_0
	v_lshlrev_b32_sdwa v10, v11, v10 dst_sel:DWORD dst_unused:UNUSED_PAD src0_sel:DWORD src1_sel:BYTE_0
	v_mul_u32_u24_e32 v11, 0x258, v16
	v_add3_u32 v13, 0, v13, v15
	v_add3_u32 v10, 0, v11, v10
	s_waitcnt vmcnt(4) lgkmcnt(5)
	v_mul_f16_sdwa v41, v51, v42 dst_sel:DWORD dst_unused:UNUSED_PAD src0_sel:DWORD src1_sel:WORD_1
	v_mul_f16_sdwa v18, v117, v42 dst_sel:DWORD dst_unused:UNUSED_PAD src0_sel:DWORD src1_sel:WORD_1
	v_fma_f16 v41, v117, v42, v41
	v_fma_f16 v42, v51, v42, -v18
	s_waitcnt lgkmcnt(4)
	v_mul_f16_sdwa v18, v56, v43 dst_sel:DWORD dst_unused:UNUSED_PAD src0_sel:DWORD src1_sel:WORD_1
	v_fma_f16 v75, v71, v43, v18
	v_mul_f16_sdwa v18, v71, v43 dst_sel:DWORD dst_unused:UNUSED_PAD src0_sel:DWORD src1_sel:WORD_1
	v_fma_f16 v71, v56, v43, -v18
	s_waitcnt lgkmcnt(3)
	v_mul_f16_sdwa v18, v57, v44 dst_sel:DWORD dst_unused:UNUSED_PAD src0_sel:DWORD src1_sel:WORD_1
	v_fma_f16 v43, v82, v44, v18
	v_mul_u32_u24_sdwa v18, v9, s18 dst_sel:DWORD dst_unused:UNUSED_PAD src0_sel:WORD_0 src1_sel:DWORD
	v_lshrrev_b32_e32 v18, 20, v18
	v_mul_lo_u16_e32 v51, 30, v18
	v_sub_u16_e32 v9, v9, v51
	v_mul_f16_sdwa v56, v82, v44 dst_sel:DWORD dst_unused:UNUSED_PAD src0_sel:DWORD src1_sel:WORD_1
	v_mul_u32_u24_e32 v51, 9, v9
	v_fma_f16 v44, v57, v44, -v56
	s_waitcnt lgkmcnt(1)
	v_mul_f16_sdwa v56, v58, v45 dst_sel:DWORD dst_unused:UNUSED_PAD src0_sel:DWORD src1_sel:WORD_1
	v_lshlrev_b32_e32 v51, 2, v51
	v_fma_f16 v78, v88, v45, v56
	v_mul_f16_sdwa v56, v88, v45 dst_sel:DWORD dst_unused:UNUSED_PAD src0_sel:DWORD src1_sel:WORD_1
	global_load_dwordx4 v[101:104], v51, s[12:13] offset:108
	v_fma_f16 v76, v58, v45, -v56
	ds_read_u16 v63, v30 offset:3600
	ds_read_u16 v45, v30 offset:2700
	ds_read_u16 v56, v30 offset:2880
	ds_read_u16 v110, v30 offset:3060
	ds_read_u16 v57, v30 offset:3420
	ds_read_u16 v58, v30 offset:3240
	ds_read_u16 v113, v30 offset:2520
	s_waitcnt vmcnt(4) lgkmcnt(5)
	v_mul_f16_sdwa v60, v45, v46 dst_sel:DWORD dst_unused:UNUSED_PAD src0_sel:DWORD src1_sel:WORD_1
	v_fma_f16 v73, v111, v46, v60
	v_mul_f16_sdwa v60, v111, v46 dst_sel:DWORD dst_unused:UNUSED_PAD src0_sel:DWORD src1_sel:WORD_1
	v_fma_f16 v69, v45, v46, -v60
	s_waitcnt lgkmcnt(1)
	v_mul_f16_sdwa v45, v58, v47 dst_sel:DWORD dst_unused:UNUSED_PAD src0_sel:DWORD src1_sel:WORD_1
	global_load_dwordx4 v[105:108], v51, s[12:13] offset:124
	v_fma_f16 v82, v90, v47, v45
	v_mul_f16_sdwa v45, v90, v47 dst_sel:DWORD dst_unused:UNUSED_PAD src0_sel:DWORD src1_sel:WORD_1
	v_fma_f16 v77, v58, v47, -v45
	ds_read_u16 v111, v30 offset:4680
	ds_read_u16 v45, v30 offset:3780
	;; [unrolled: 1-line block ×8, first 2 shown]
	global_load_dword v117, v50, s[12:13] offset:140
	v_mul_f16_sdwa v50, v87, v48 dst_sel:DWORD dst_unused:UNUSED_PAD src0_sel:DWORD src1_sel:WORD_1
	s_waitcnt lgkmcnt(6)
	v_mul_f16_sdwa v58, v45, v48 dst_sel:DWORD dst_unused:UNUSED_PAD src0_sel:DWORD src1_sel:WORD_1
	v_fma_f16 v81, v45, v48, -v50
	s_waitcnt lgkmcnt(0)
	v_mul_f16_sdwa v45, v47, v49 dst_sel:DWORD dst_unused:UNUSED_PAD src0_sel:DWORD src1_sel:WORD_1
	v_fma_f16 v88, v112, v49, v45
	v_mul_f16_sdwa v45, v112, v49 dst_sel:DWORD dst_unused:UNUSED_PAD src0_sel:DWORD src1_sel:WORD_1
	v_fma_f16 v85, v87, v48, v58
	v_fma_f16 v87, v47, v49, -v45
	ds_read_u16 v45, v30 offset:720
	ds_read_u16 v48, v30 offset:900
	global_load_dword v89, v51, s[12:13] offset:140
	ds_read_u16 v49, v30 offset:1800
	ds_read_u16 v51, v30 offset:1440
	ds_read_u16 v50, v30 offset:1260
	ds_read_u16 v90, v30
	v_mul_u32_u24_e32 v11, 0x258, v18
	s_waitcnt vmcnt(6) lgkmcnt(5)
	v_mul_f16_sdwa v47, v45, v52 dst_sel:DWORD dst_unused:UNUSED_PAD src0_sel:DWORD src1_sel:WORD_1
	v_fma_f16 v79, v68, v52, v47
	v_mul_f16_sdwa v47, v68, v52 dst_sel:DWORD dst_unused:UNUSED_PAD src0_sel:DWORD src1_sel:WORD_1
	v_fma_f16 v47, v45, v52, -v47
	s_waitcnt lgkmcnt(1)
	v_mul_f16_sdwa v45, v50, v53 dst_sel:DWORD dst_unused:UNUSED_PAD src0_sel:DWORD src1_sel:WORD_1
	v_fma_f16 v61, v80, v53, v45
	v_mul_f16_sdwa v45, v80, v53 dst_sel:DWORD dst_unused:UNUSED_PAD src0_sel:DWORD src1_sel:WORD_1
	v_fma_f16 v53, v50, v53, -v45
	ds_read_u16 v45, v30 offset:2340
	v_mul_f16_sdwa v50, v49, v54 dst_sel:DWORD dst_unused:UNUSED_PAD src0_sel:DWORD src1_sel:WORD_1
	v_fma_f16 v80, v83, v54, v50
	v_mul_f16_sdwa v50, v83, v54 dst_sel:DWORD dst_unused:UNUSED_PAD src0_sel:DWORD src1_sel:WORD_1
	v_fma_f16 v50, v49, v54, -v50
	s_waitcnt lgkmcnt(0)
	v_mul_f16_sdwa v49, v45, v55 dst_sel:DWORD dst_unused:UNUSED_PAD src0_sel:DWORD src1_sel:WORD_1
	v_fma_f16 v64, v66, v55, v49
	v_mul_f16_sdwa v49, v66, v55 dst_sel:DWORD dst_unused:UNUSED_PAD src0_sel:DWORD src1_sel:WORD_1
	v_fma_f16 v58, v45, v55, -v49
	s_waitcnt vmcnt(4)
	v_mul_f16_sdwa v45, v56, v97 dst_sel:DWORD dst_unused:UNUSED_PAD src0_sel:DWORD src1_sel:WORD_1
	v_fma_f16 v83, v96, v97, v45
	v_mul_f16_sdwa v45, v96, v97 dst_sel:DWORD dst_unused:UNUSED_PAD src0_sel:DWORD src1_sel:WORD_1
	v_fma_f16 v54, v56, v97, -v45
	v_mul_f16_sdwa v45, v57, v98 dst_sel:DWORD dst_unused:UNUSED_PAD src0_sel:DWORD src1_sel:WORD_1
	v_fma_f16 v65, v84, v98, v45
	v_mul_f16_sdwa v45, v84, v98 dst_sel:DWORD dst_unused:UNUSED_PAD src0_sel:DWORD src1_sel:WORD_1
	v_fma_f16 v60, v57, v98, -v45
	;; [unrolled: 4-line block ×4, first 2 shown]
	ds_read_u16 v98, v33
	v_sub_f16_e32 v95, v71, v87
	v_sub_f16_e32 v97, v76, v77
	;; [unrolled: 1-line block ×3, first 2 shown]
	v_lshlrev_b32_e32 v9, 1, v9
	v_add3_u32 v9, 0, v11, v9
	v_sub_f16_e32 v11, v61, v66
	v_sub_f16_e32 v18, v60, v62
	s_waitcnt lgkmcnt(0)
	v_add_f16_e32 v16, v98, v53
	v_add_f16_e32 v16, v16, v58
	;; [unrolled: 1-line block ×4, first 2 shown]
	s_waitcnt vmcnt(3)
	v_mul_f16_sdwa v20, v48, v101 dst_sel:DWORD dst_unused:UNUSED_PAD src0_sel:DWORD src1_sel:WORD_1
	v_fma_f16 v68, v94, v101, v20
	v_mul_f16_sdwa v20, v94, v101 dst_sel:DWORD dst_unused:UNUSED_PAD src0_sel:DWORD src1_sel:WORD_1
	v_mul_f16_sdwa v45, v51, v102 dst_sel:DWORD dst_unused:UNUSED_PAD src0_sel:DWORD src1_sel:WORD_1
	;; [unrolled: 1-line block ×3, first 2 shown]
	v_fma_f16 v20, v48, v101, -v20
	v_fma_f16 v52, v70, v102, v45
	v_mul_f16_sdwa v45, v70, v102 dst_sel:DWORD dst_unused:UNUSED_PAD src0_sel:DWORD src1_sel:WORD_1
	v_fma_f16 v70, v21, v103, v46
	v_mul_f16_sdwa v21, v21, v103 dst_sel:DWORD dst_unused:UNUSED_PAD src0_sel:DWORD src1_sel:WORD_1
	s_waitcnt vmcnt(2)
	v_mul_f16_sdwa v48, v63, v106 dst_sel:DWORD dst_unused:UNUSED_PAD src0_sel:DWORD src1_sel:WORD_1
	v_fma_f16 v21, v59, v103, -v21
	v_fma_f16 v59, v74, v106, v48
	v_mul_f16_sdwa v48, v74, v106 dst_sel:DWORD dst_unused:UNUSED_PAD src0_sel:DWORD src1_sel:WORD_1
	v_fma_f16 v45, v51, v102, -v45
	v_fma_f16 v51, v63, v106, -v48
	v_mul_f16_sdwa v48, v114, v107 dst_sel:DWORD dst_unused:UNUSED_PAD src0_sel:DWORD src1_sel:WORD_1
	v_fma_f16 v74, v93, v107, v48
	v_mul_f16_sdwa v48, v93, v107 dst_sel:DWORD dst_unused:UNUSED_PAD src0_sel:DWORD src1_sel:WORD_1
	ds_read_u16 v93, v30 offset:5220
	v_mul_f16_sdwa v46, v113, v104 dst_sel:DWORD dst_unused:UNUSED_PAD src0_sel:DWORD src1_sel:WORD_1
	v_fma_f16 v56, v72, v104, v46
	v_mul_f16_sdwa v46, v72, v104 dst_sel:DWORD dst_unused:UNUSED_PAD src0_sel:DWORD src1_sel:WORD_1
	v_mul_f16_sdwa v55, v111, v108 dst_sel:DWORD dst_unused:UNUSED_PAD src0_sel:DWORD src1_sel:WORD_1
	s_waitcnt vmcnt(0) lgkmcnt(0)
	v_mul_f16_sdwa v94, v93, v89 dst_sel:DWORD dst_unused:UNUSED_PAD src0_sel:DWORD src1_sel:WORD_1
	v_fma_f16 v94, v19, v89, v94
	v_mul_f16_sdwa v19, v19, v89 dst_sel:DWORD dst_unused:UNUSED_PAD src0_sel:DWORD src1_sel:WORD_1
	v_fma_f16 v19, v93, v89, -v19
	v_sub_f16_e32 v89, v75, v78
	v_sub_f16_e32 v93, v88, v82
	v_add_f16_e32 v89, v89, v93
	v_add_f16_e32 v93, v78, v82
	v_fma_f16 v93, v93, -0.5, v17
	v_fma_f16 v96, v95, s9, v93
	v_fma_f16 v93, v95, s0, v93
	;; [unrolled: 1-line block ×6, first 2 shown]
	v_sub_f16_e32 v93, v78, v75
	v_add_f16_e32 v93, v93, v99
	v_add_f16_e32 v99, v75, v88
	v_fma_f16 v99, v99, -0.5, v17
	v_add_f16_e32 v17, v17, v75
	v_add_f16_e32 v17, v17, v78
	;; [unrolled: 1-line block ×4, first 2 shown]
	v_sub_f16_e32 v75, v75, v88
	v_sub_f16_e32 v78, v78, v82
	v_sub_f16_e32 v82, v71, v76
	v_sub_f16_e32 v88, v87, v77
	v_fma_f16 v100, v97, s0, v99
	v_fma_f16 v97, v97, s9, v99
	v_add_f16_e32 v82, v82, v88
	v_add_f16_e32 v88, v76, v77
	v_fma_f16 v99, v95, s8, v100
	v_fma_f16 v95, v95, s1, v97
	v_fma_f16 v88, v88, -0.5, v90
	v_fma_f16 v97, v93, s14, v99
	v_fma_f16 v93, v93, s14, v95
	;; [unrolled: 1-line block ×8, first 2 shown]
	v_add_f16_e32 v88, v71, v87
	v_fma_f16 v88, v88, -0.5, v90
	v_add_f16_e32 v90, v90, v71
	v_add_f16_e32 v90, v90, v76
	v_sub_f16_e32 v71, v76, v71
	v_add_f16_e32 v76, v90, v77
	v_sub_f16_e32 v77, v77, v87
	v_fma_f16 v49, v113, v104, -v46
	v_mul_f16_sdwa v46, v110, v105 dst_sel:DWORD dst_unused:UNUSED_PAD src0_sel:DWORD src1_sel:WORD_1
	v_fma_f16 v63, v91, v108, v55
	v_mul_f16_sdwa v55, v91, v108 dst_sel:DWORD dst_unused:UNUSED_PAD src0_sel:DWORD src1_sel:WORD_1
	v_mul_f16_sdwa v91, v116, v117 dst_sel:DWORD dst_unused:UNUSED_PAD src0_sel:DWORD src1_sel:WORD_1
	v_add_f16_e32 v71, v71, v77
	v_fma_f16 v77, v78, s9, v88
	v_fma_f16 v78, v78, s0, v88
	;; [unrolled: 1-line block ×3, first 2 shown]
	v_mul_f16_sdwa v46, v92, v105 dst_sel:DWORD dst_unused:UNUSED_PAD src0_sel:DWORD src1_sel:WORD_1
	v_fma_f16 v92, v86, v117, v91
	v_fma_f16 v77, v75, s1, v77
	v_fma_f16 v75, v75, s8, v78
	v_mul_f16_sdwa v86, v86, v117 dst_sel:DWORD dst_unused:UNUSED_PAD src0_sel:DWORD src1_sel:WORD_1
	v_fma_f16 v77, v71, s14, v77
	v_fma_f16 v71, v71, s14, v75
	v_sub_f16_e32 v75, v43, v73
	v_sub_f16_e32 v78, v92, v85
	v_fma_f16 v91, v116, v117, -v86
	v_add_f16_e32 v75, v75, v78
	v_add_f16_e32 v78, v73, v85
	;; [unrolled: 1-line block ×3, first 2 shown]
	v_fma_f16 v78, v78, -0.5, v41
	v_sub_f16_e32 v87, v44, v91
	v_fma_f16 v88, v87, s9, v78
	v_sub_f16_e32 v90, v69, v81
	v_fma_f16 v78, v87, s0, v78
	v_fma_f16 v88, v90, s8, v88
	;; [unrolled: 1-line block ×5, first 2 shown]
	v_sub_f16_e32 v78, v73, v43
	v_sub_f16_e32 v99, v85, v92
	v_add_f16_e32 v78, v78, v99
	v_add_f16_e32 v99, v43, v92
	v_fma_f16 v99, v99, -0.5, v41
	v_fma_f16 v100, v90, s0, v99
	v_fma_f16 v90, v90, s9, v99
	v_add_f16_e32 v41, v41, v43
	v_fma_f16 v99, v87, s8, v100
	v_fma_f16 v87, v87, s1, v90
	v_add_f16_e32 v41, v41, v73
	;; [unrolled: 3-line block ×3, first 2 shown]
	v_sub_f16_e32 v73, v73, v85
	v_sub_f16_e32 v85, v44, v69
	;; [unrolled: 1-line block ×3, first 2 shown]
	v_add_f16_e32 v85, v85, v87
	v_add_f16_e32 v87, v69, v81
	v_sub_f16_e32 v43, v43, v92
	v_fma_f16 v87, v87, -0.5, v42
	v_add_f16_e32 v41, v41, v92
	v_fma_f16 v92, v43, s0, v87
	v_fma_f16 v87, v43, s9, v87
	;; [unrolled: 1-line block ×6, first 2 shown]
	v_add_f16_e32 v87, v44, v91
	v_fma_f16 v87, v87, -0.5, v42
	v_add_f16_e32 v42, v42, v44
	v_add_f16_e32 v42, v42, v69
	v_sub_f16_e32 v44, v69, v44
	v_sub_f16_e32 v69, v81, v91
	v_add_f16_e32 v44, v44, v69
	v_fma_f16 v69, v73, s9, v87
	v_fma_f16 v73, v73, s0, v87
	;; [unrolled: 1-line block ×5, first 2 shown]
	v_add_f16_e32 v42, v42, v81
	v_mul_f16_e32 v87, 0xbb9c, v43
	v_mul_f16_e32 v43, 0xb4f2, v43
	v_add_f16_e32 v42, v42, v91
	v_fma_f16 v69, v44, s14, v69
	v_fma_f16 v43, v78, s0, v43
	v_fma_f16 v46, v110, v105, -v46
	v_mul_f16_e32 v81, 0xbb9c, v69
	v_mul_f16_e32 v69, 0x34f2, v69
	v_add_f16_e32 v99, v76, v42
	v_sub_f16_e32 v100, v76, v42
	v_add_f16_e32 v105, v71, v43
	v_sub_f16_e32 v106, v71, v43
	v_sub_f16_e32 v42, v61, v64
	;; [unrolled: 1-line block ×3, first 2 shown]
	v_mul_f16_e32 v73, 0x3a79, v92
	v_fma_f16 v69, v90, s0, v69
	v_add_f16_e32 v42, v42, v43
	v_add_f16_e32 v43, v64, v65
	v_fma_f16 v73, v88, s1, v73
	v_add_f16_e32 v103, v77, v69
	v_sub_f16_e32 v104, v77, v69
	v_fma_f16 v43, v43, -0.5, v14
	v_sub_f16_e32 v69, v53, v62
	v_fma_f16 v87, v78, s16, v87
	v_mul_f16_e32 v78, 0xb8b4, v85
	v_mul_f16_e32 v85, 0xba79, v85
	v_add_f16_e32 v101, v95, v73
	v_sub_f16_e32 v102, v95, v73
	v_fma_f16 v71, v69, s9, v43
	v_sub_f16_e32 v73, v58, v60
	v_fma_f16 v43, v69, s0, v43
	v_fma_f16 v78, v75, s17, v78
	;; [unrolled: 1-line block ×5, first 2 shown]
	v_fma_f16 v48, v114, v107, -v48
	v_fma_f16 v55, v111, v108, -v55
	v_add_f16_e32 v107, v82, v75
	v_sub_f16_e32 v108, v82, v75
	v_fma_f16 v71, v42, s14, v71
	v_fma_f16 v42, v42, s14, v43
	v_sub_f16_e32 v43, v64, v61
	v_sub_f16_e32 v75, v65, v66
	v_add_f16_e32 v43, v43, v75
	v_add_f16_e32 v75, v61, v66
	v_fma_f16 v75, v75, -0.5, v14
	v_mul_f16_sdwa v86, v115, v109 dst_sel:DWORD dst_unused:UNUSED_PAD src0_sel:DWORD src1_sel:WORD_1
	v_fma_f16 v76, v73, s0, v75
	v_fma_f16 v73, v73, s9, v75
	;; [unrolled: 1-line block ×5, first 2 shown]
	v_mul_f16_sdwa v67, v67, v109 dst_sel:DWORD dst_unused:UNUSED_PAD src0_sel:DWORD src1_sel:WORD_1
	v_fma_f16 v73, v43, s14, v75
	v_fma_f16 v43, v43, s14, v69
	v_sub_f16_e32 v69, v80, v83
	v_sub_f16_e32 v75, v86, v84
	v_fma_f16 v67, v115, v109, -v67
	v_add_f16_e32 v69, v69, v75
	v_add_f16_e32 v75, v83, v84
	v_fma_f16 v75, v75, -0.5, v79
	v_sub_f16_e32 v76, v50, v67
	v_fma_f16 v77, v76, s9, v75
	v_sub_f16_e32 v82, v54, v57
	v_fma_f16 v75, v76, s0, v75
	v_fma_f16 v77, v82, s8, v77
	;; [unrolled: 1-line block ×5, first 2 shown]
	v_sub_f16_e32 v69, v83, v80
	v_sub_f16_e32 v75, v84, v86
	v_add_f16_e32 v69, v69, v75
	v_add_f16_e32 v75, v80, v86
	v_fma_f16 v75, v75, -0.5, v79
	v_fma_f16 v77, v82, s0, v75
	v_fma_f16 v75, v82, s9, v75
	;; [unrolled: 1-line block ×6, first 2 shown]
	v_add_f16_e32 v69, v79, v80
	v_sub_f16_e32 v77, v50, v54
	v_sub_f16_e32 v79, v67, v57
	v_add_f16_e32 v77, v77, v79
	v_add_f16_e32 v79, v54, v57
	v_sub_f16_e32 v75, v80, v86
	v_fma_f16 v79, v79, -0.5, v47
	v_sub_f16_e32 v76, v83, v84
	v_fma_f16 v80, v75, s0, v79
	v_fma_f16 v79, v75, s9, v79
	;; [unrolled: 1-line block ×6, first 2 shown]
	v_sub_f16_e32 v77, v54, v50
	v_sub_f16_e32 v79, v57, v67
	v_add_f16_e32 v77, v77, v79
	v_add_f16_e32 v79, v50, v67
	;; [unrolled: 1-line block ×4, first 2 shown]
	v_fma_f16 v79, v79, -0.5, v47
	v_add_f16_e32 v14, v14, v64
	v_add_f16_e32 v69, v69, v84
	v_fma_f16 v80, v76, s9, v79
	v_fma_f16 v76, v76, s0, v79
	v_add_f16_e32 v14, v14, v65
	v_add_f16_e32 v69, v69, v86
	v_fma_f16 v79, v75, s1, v80
	v_fma_f16 v75, v75, s8, v76
	v_add_f16_e32 v14, v14, v66
	v_fma_f16 v116, v77, s14, v75
	v_add_f16_e32 v75, v14, v69
	v_sub_f16_e32 v14, v14, v69
	v_mul_f16_e32 v69, 0xb8b4, v113
	v_fma_f16 v115, v77, s14, v79
	v_fma_f16 v69, v109, s15, v69
	v_add_f16_e32 v76, v71, v69
	v_sub_f16_e32 v69, v71, v69
	v_mul_f16_e32 v71, 0xbb9c, v115
	v_fma_f16 v71, v111, s14, v71
	v_add_f16_e32 v77, v73, v71
	v_sub_f16_e32 v71, v73, v71
	v_mul_f16_e32 v73, 0xbb9c, v116
	;; [unrolled: 4-line block ×3, first 2 shown]
	v_fma_f16 v73, v110, s17, v73
	v_add_f16_e32 v80, v42, v73
	v_sub_f16_e32 v42, v42, v73
	v_sub_f16_e32 v73, v52, v56
	;; [unrolled: 1-line block ×3, first 2 shown]
	v_add_f16_e32 v73, v73, v82
	v_add_f16_e32 v82, v56, v59
	v_fma_f16 v82, v82, -0.5, v12
	v_sub_f16_e32 v83, v45, v55
	v_fma_f16 v84, v83, s9, v82
	v_sub_f16_e32 v86, v49, v51
	v_fma_f16 v82, v83, s0, v82
	v_fma_f16 v84, v86, s8, v84
	;; [unrolled: 1-line block ×3, first 2 shown]
	v_add_f16_e32 v91, v89, v78
	v_sub_f16_e32 v78, v89, v78
	v_fma_f16 v84, v73, s14, v84
	v_fma_f16 v73, v73, s14, v82
	v_sub_f16_e32 v82, v56, v52
	v_sub_f16_e32 v89, v59, v63
	v_add_f16_e32 v82, v82, v89
	v_add_f16_e32 v89, v52, v63
	v_fma_f16 v89, v89, -0.5, v12
	v_mul_f16_e32 v44, 0xb8b4, v92
	v_fma_f16 v92, v86, s0, v89
	v_fma_f16 v86, v86, s9, v89
	;; [unrolled: 1-line block ×6, first 2 shown]
	v_sub_f16_e32 v83, v70, v72
	v_sub_f16_e32 v89, v94, v74
	v_add_f16_e32 v83, v83, v89
	v_add_f16_e32 v89, v72, v74
	v_fma_f16 v89, v89, -0.5, v68
	v_sub_f16_e32 v92, v21, v19
	v_fma_f16 v81, v90, s14, v81
	v_add_f16_e32 v90, v93, v87
	v_sub_f16_e32 v87, v93, v87
	v_fma_f16 v93, v92, s9, v89
	v_sub_f16_e32 v95, v46, v48
	v_fma_f16 v89, v92, s0, v89
	v_fma_f16 v93, v95, s8, v93
	;; [unrolled: 1-line block ×5, first 2 shown]
	v_sub_f16_e32 v83, v72, v70
	v_sub_f16_e32 v89, v74, v94
	v_add_f16_e32 v83, v83, v89
	v_add_f16_e32 v89, v70, v94
	v_fma_f16 v89, v89, -0.5, v68
	v_fma_f16 v93, v95, s0, v89
	v_fma_f16 v89, v95, s9, v89
	v_add_f16_e32 v68, v68, v70
	v_fma_f16 v93, v92, s8, v93
	v_fma_f16 v89, v92, s1, v89
	v_add_f16_e32 v68, v68, v72
	;; [unrolled: 3-line block ×3, first 2 shown]
	v_sub_f16_e32 v72, v72, v74
	v_sub_f16_e32 v74, v21, v46
	;; [unrolled: 1-line block ×3, first 2 shown]
	v_add_f16_e32 v74, v74, v83
	v_add_f16_e32 v83, v46, v48
	v_sub_f16_e32 v70, v70, v94
	v_fma_f16 v83, v83, -0.5, v20
	v_fma_f16 v89, v70, s0, v83
	v_fma_f16 v83, v70, s9, v83
	;; [unrolled: 1-line block ×6, first 2 shown]
	v_sub_f16_e32 v74, v46, v21
	v_sub_f16_e32 v83, v48, v19
	v_add_f16_e32 v74, v74, v83
	v_add_f16_e32 v83, v21, v19
	;; [unrolled: 1-line block ×3, first 2 shown]
	v_fma_f16 v83, v83, -0.5, v20
	v_add_f16_e32 v12, v12, v56
	v_fma_f16 v89, v72, s9, v83
	v_fma_f16 v72, v72, s0, v83
	v_add_f16_e32 v12, v12, v59
	v_add_f16_e32 v68, v68, v94
	v_fma_f16 v83, v70, s1, v89
	v_fma_f16 v70, v70, s8, v72
	v_add_f16_e32 v12, v12, v63
	v_fma_f16 v124, v74, s14, v70
	v_add_f16_e32 v70, v12, v68
	v_sub_f16_e32 v12, v12, v68
	v_mul_f16_e32 v68, 0xb8b4, v121
	v_fma_f16 v123, v74, s14, v83
	v_fma_f16 v68, v117, s15, v68
	v_add_f16_e32 v72, v84, v68
	v_sub_f16_e32 v68, v84, v68
	v_mul_f16_e32 v74, 0xbb9c, v123
	v_mul_f16_e32 v84, 0xbb9c, v124
	v_fma_f16 v74, v119, s14, v74
	v_fma_f16 v84, v120, s16, v84
	;; [unrolled: 1-line block ×3, first 2 shown]
	v_add_f16_e32 v83, v86, v74
	v_sub_f16_e32 v74, v86, v74
	v_add_f16_e32 v86, v82, v84
	v_sub_f16_e32 v82, v82, v84
	v_mul_f16_e32 v84, 0xb8b4, v122
	v_add_f16_e32 v85, v17, v41
	v_sub_f16_e32 v17, v17, v41
	v_add_f16_e32 v41, v96, v44
	v_fma_f16 v84, v118, s17, v84
	v_sub_f16_e32 v44, v96, v44
	v_add_f16_e32 v88, v97, v81
	v_sub_f16_e32 v81, v97, v81
	v_add_f16_e32 v89, v73, v84
	v_sub_f16_e32 v73, v73, v84
	s_barrier
	ds_write_b16 v13, v85
	ds_write_b16 v13, v41 offset:60
	ds_write_b16 v13, v88 offset:120
	;; [unrolled: 1-line block ×9, first 2 shown]
	ds_write_b16 v10, v75
	ds_write_b16 v10, v76 offset:60
	ds_write_b16 v10, v77 offset:120
	;; [unrolled: 1-line block ×9, first 2 shown]
	v_lshl_add_u32 v42, v24, 1, 0
	v_lshl_add_u32 v41, v25, 1, 0
	ds_write_b16 v9, v70
	ds_write_b16 v9, v72 offset:60
	ds_write_b16 v9, v83 offset:120
	;; [unrolled: 1-line block ×9, first 2 shown]
	s_waitcnt lgkmcnt(0)
	s_barrier
	ds_read_u16 v69, v42
	ds_read_u16 v91, v30 offset:3960
	ds_read_u16 v89, v30 offset:4140
	ds_read_u16 v86, v30 offset:4320
	ds_read_u16 v75, v30
	ds_read_u16 v97, v30 offset:1800
	ds_read_u16 v94, v30 offset:1980
	;; [unrolled: 1-line block ×7, first 2 shown]
	v_lshl_add_u32 v43, v27, 1, 0
	ds_read_u16 v72, v41
	ds_read_u16 v70, v43
	v_lshl_add_u32 v44, v28, 1, 0
	ds_read_u16 v68, v39
	ds_read_u16 v73, v40
	ds_read_u16 v74, v38
	ds_read_u16 v71, v44
	ds_read_u16 v83, v30 offset:3060
	ds_read_u16 v80, v30 offset:3240
	;; [unrolled: 1-line block ×9, first 2 shown]
	ds_read_u16 v76, v34
	ds_read_u16 v77, v33
	ds_read_u16 v78, v30 offset:5220
	s_waitcnt lgkmcnt(0)
	s_barrier
	ds_write_b16 v13, v99
	ds_write_b16 v13, v101 offset:60
	ds_write_b16 v13, v103 offset:120
	;; [unrolled: 1-line block ×9, first 2 shown]
	v_sub_f16_e32 v13, v53, v58
	v_sub_f16_e32 v14, v62, v60
	v_add_f16_e32 v13, v13, v14
	v_add_f16_e32 v14, v58, v60
	v_fma_f16 v14, v14, -0.5, v98
	v_sub_f16_e32 v12, v64, v65
	v_fma_f16 v15, v11, s0, v14
	v_fma_f16 v14, v11, s9, v14
	;; [unrolled: 1-line block ×6, first 2 shown]
	v_add_f16_e32 v14, v53, v62
	v_fma_f16 v14, v14, -0.5, v98
	v_sub_f16_e32 v17, v58, v53
	v_add_f16_e32 v17, v17, v18
	v_fma_f16 v18, v12, s9, v14
	v_fma_f16 v12, v12, s0, v14
	;; [unrolled: 1-line block ×5, first 2 shown]
	v_add_f16_e32 v14, v47, v50
	v_add_f16_e32 v14, v14, v54
	v_fma_f16 v11, v17, s14, v11
	v_add_f16_e32 v14, v14, v57
	v_mul_f16_e32 v17, 0x3a79, v113
	v_mul_f16_e32 v18, 0x34f2, v115
	;; [unrolled: 1-line block ×4, first 2 shown]
	v_add_f16_e32 v14, v14, v67
	v_fma_f16 v17, v109, s1, v17
	v_fma_f16 v18, v111, s0, v18
	;; [unrolled: 1-line block ×4, first 2 shown]
	v_add_f16_e32 v53, v16, v14
	v_sub_f16_e32 v14, v16, v14
	v_add_f16_e32 v16, v15, v17
	v_sub_f16_e32 v15, v15, v17
	;; [unrolled: 2-line block ×5, first 2 shown]
	v_sub_f16_e32 v50, v52, v63
	v_sub_f16_e32 v52, v56, v59
	;; [unrolled: 1-line block ×4, first 2 shown]
	v_add_f16_e32 v54, v54, v56
	v_add_f16_e32 v56, v49, v51
	v_fma_f16 v56, v56, -0.5, v6
	v_fma_f16 v57, v50, s0, v56
	v_fma_f16 v56, v50, s9, v56
	;; [unrolled: 1-line block ×6, first 2 shown]
	v_add_f16_e32 v56, v45, v55
	v_fma_f16 v56, v56, -0.5, v6
	v_add_f16_e32 v6, v6, v45
	v_add_f16_e32 v20, v20, v21
	;; [unrolled: 1-line block ×3, first 2 shown]
	v_sub_f16_e32 v45, v49, v45
	v_sub_f16_e32 v49, v51, v55
	v_add_f16_e32 v20, v20, v46
	v_add_f16_e32 v6, v6, v51
	;; [unrolled: 1-line block ×3, first 2 shown]
	v_fma_f16 v49, v52, s9, v56
	v_fma_f16 v51, v52, s0, v56
	v_add_f16_e32 v20, v20, v48
	v_add_f16_e32 v6, v6, v55
	v_fma_f16 v49, v50, s1, v49
	v_fma_f16 v50, v50, s8, v51
	v_add_f16_e32 v19, v20, v19
	v_mul_f16_e32 v20, 0x3a79, v121
	v_mul_f16_e32 v21, 0x34f2, v123
	;; [unrolled: 1-line block ×4, first 2 shown]
	v_fma_f16 v49, v45, s14, v49
	v_fma_f16 v45, v45, s14, v50
	;; [unrolled: 1-line block ×6, first 2 shown]
	v_add_f16_e32 v50, v6, v19
	v_sub_f16_e32 v6, v6, v19
	v_add_f16_e32 v19, v57, v20
	v_sub_f16_e32 v20, v57, v20
	;; [unrolled: 2-line block ×5, first 2 shown]
	ds_write_b16 v10, v53
	ds_write_b16 v10, v16 offset:60
	ds_write_b16 v10, v17 offset:120
	;; [unrolled: 1-line block ×9, first 2 shown]
	ds_write_b16 v9, v50
	ds_write_b16 v9, v19 offset:60
	ds_write_b16 v9, v51 offset:120
	;; [unrolled: 1-line block ×9, first 2 shown]
	v_mov_b32_e32 v6, 0
	v_lshlrev_b64 v[10:11], 2, v[5:6]
	v_mov_b32_e32 v51, s13
	v_add_co_u32_e64 v10, s[0:1], s12, v10
	v_addc_co_u32_e64 v11, s[0:1], v51, v11, s[0:1]
	s_waitcnt lgkmcnt(0)
	s_barrier
	global_load_dwordx2 v[16:17], v[10:11], off offset:1188
	v_mov_b32_e32 v9, v6
	v_lshlrev_b64 v[8:9], 2, v[8:9]
	v_mov_b32_e32 v15, v6
	v_add_co_u32_e64 v12, s[0:1], s12, v8
	v_mov_b32_e32 v8, v6
	v_lshlrev_b64 v[7:8], 2, v[7:8]
	v_addc_co_u32_e64 v13, s[0:1], v51, v9, s[0:1]
	global_load_dwordx2 v[18:19], v[12:13], off offset:1188
	v_add_co_u32_e64 v7, s[0:1], s12, v7
	v_addc_co_u32_e64 v8, s[0:1], v51, v8, s[0:1]
	v_subrev_u32_e32 v9, 30, v22
	v_cmp_gt_u32_e64 s[0:1], 30, v22
	v_cndmask_b32_e64 v9, v9, v23, s[0:1]
	v_lshlrev_b32_e32 v14, 1, v9
	v_lshlrev_b64 v[45:46], 2, v[14:15]
	v_add_u32_e32 v47, 0x78, v5
	v_add_co_u32_e64 v45, s[0:1], s12, v45
	v_addc_co_u32_e64 v46, s[0:1], v51, v46, s[0:1]
	global_load_dwordx2 v[45:46], v[45:46], off offset:1188
	v_mov_b32_e32 v48, v6
	global_load_dwordx2 v[20:21], v[7:8], off offset:1188
	v_lshlrev_b64 v[47:48], 2, v[47:48]
	v_add_u32_e32 v5, 0x12c, v5
	v_add_co_u32_e64 v47, s[0:1], s12, v47
	v_lshlrev_b64 v[49:50], 2, v[5:6]
	v_addc_co_u32_e64 v48, s[0:1], v51, v48, s[0:1]
	v_add_co_u32_e64 v49, s[0:1], s12, v49
	v_addc_co_u32_e64 v50, s[0:1], v51, v50, s[0:1]
	global_load_dwordx2 v[47:48], v[47:48], off offset:1188
	v_lshrrev_b16_e32 v51, 2, v27
	global_load_dwordx2 v[49:50], v[49:50], off offset:1188
	ds_read_u16 v5, v30 offset:1800
	ds_read_u16 v9, v30 offset:1980
	;; [unrolled: 1-line block ×7, first 2 shown]
	ds_read_u16 v62, v30
	v_mul_u32_u24_e32 v51, 0x6d3b, v51
	v_lshrrev_b32_e32 v51, 21, v51
	v_mul_lo_u16_e32 v51, 0x12c, v51
	v_sub_u16_e32 v66, v27, v51
	v_lshrrev_b16_e32 v51, 2, v28
	v_mul_u32_u24_e32 v51, 0x6d3b, v51
	v_lshrrev_b32_e32 v53, 21, v51
	v_lshlrev_b32_e32 v51, 3, v66
	global_load_dwordx2 v[51:52], v51, s[12:13] offset:1188
	v_mul_lo_u16_e32 v53, 0x12c, v53
	v_sub_u16_e32 v67, v28, v53
	v_lshrrev_b16_e32 v55, 2, v29
	v_lshlrev_b32_e32 v53, 3, v67
	global_load_dwordx2 v[53:54], v53, s[12:13] offset:1188
	v_mul_u32_u24_e32 v55, 0x6d3b, v55
	v_lshrrev_b32_e32 v55, 21, v55
	v_mul_lo_u16_e32 v55, 0x12c, v55
	v_sub_u16_e32 v102, v29, v55
	v_lshlrev_b32_e32 v55, 3, v102
	v_cmp_lt_u32_e64 s[0:1], 29, v22
	v_lshl_add_u32 v67, v67, 1, 0
	s_waitcnt vmcnt(7) lgkmcnt(7)
	v_mul_f16_sdwa v15, v5, v16 dst_sel:DWORD dst_unused:UNUSED_PAD src0_sel:DWORD src1_sel:WORD_1
	v_fma_f16 v63, v97, v16, v15
	v_mul_f16_sdwa v15, v97, v16 dst_sel:DWORD dst_unused:UNUSED_PAD src0_sel:DWORD src1_sel:WORD_1
	v_fma_f16 v5, v5, v16, -v15
	v_lshrrev_b16_e32 v15, 2, v26
	v_mul_u32_u24_e32 v15, 0x6d3b, v15
	v_lshrrev_b32_e32 v64, 21, v15
	v_mul_lo_u16_e32 v15, 0x12c, v64
	v_sub_u16_e32 v65, v26, v15
	v_lshlrev_b32_e32 v15, 3, v65
	global_load_dwordx2 v[15:16], v15, s[12:13] offset:1188
	ds_read_u16 v97, v30 offset:3600
	ds_read_u16 v98, v30 offset:3780
	;; [unrolled: 1-line block ×5, first 2 shown]
	global_load_dwordx2 v[55:56], v55, s[12:13] offset:1188
	s_waitcnt lgkmcnt(4)
	v_mul_f16_sdwa v104, v97, v17 dst_sel:DWORD dst_unused:UNUSED_PAD src0_sel:DWORD src1_sel:WORD_1
	v_fma_f16 v104, v96, v17, v104
	v_mul_f16_sdwa v96, v96, v17 dst_sel:DWORD dst_unused:UNUSED_PAD src0_sel:DWORD src1_sel:WORD_1
	v_fma_f16 v17, v97, v17, -v96
	s_waitcnt vmcnt(8)
	v_mul_f16_sdwa v96, v9, v18 dst_sel:DWORD dst_unused:UNUSED_PAD src0_sel:DWORD src1_sel:WORD_1
	v_fma_f16 v96, v94, v18, v96
	v_mul_f16_sdwa v94, v94, v18 dst_sel:DWORD dst_unused:UNUSED_PAD src0_sel:DWORD src1_sel:WORD_1
	v_fma_f16 v9, v9, v18, -v94
	s_waitcnt lgkmcnt(3)
	v_mul_f16_sdwa v18, v98, v19 dst_sel:DWORD dst_unused:UNUSED_PAD src0_sel:DWORD src1_sel:WORD_1
	v_mul_f16_sdwa v94, v95, v19 dst_sel:DWORD dst_unused:UNUSED_PAD src0_sel:DWORD src1_sel:WORD_1
	v_fma_f16 v18, v95, v19, v18
	v_fma_f16 v19, v98, v19, -v94
	ds_read_u16 v103, v30 offset:3420
	s_waitcnt vmcnt(6)
	v_mul_f16_sdwa v94, v57, v20 dst_sel:DWORD dst_unused:UNUSED_PAD src0_sel:DWORD src1_sel:WORD_1
	v_fma_f16 v94, v93, v20, v94
	v_mul_f16_sdwa v93, v93, v20 dst_sel:DWORD dst_unused:UNUSED_PAD src0_sel:DWORD src1_sel:WORD_1
	v_fma_f16 v20, v57, v20, -v93
	s_waitcnt lgkmcnt(3)
	v_mul_f16_sdwa v57, v99, v21 dst_sel:DWORD dst_unused:UNUSED_PAD src0_sel:DWORD src1_sel:WORD_1
	v_fma_f16 v57, v91, v21, v57
	v_mul_f16_sdwa v91, v91, v21 dst_sel:DWORD dst_unused:UNUSED_PAD src0_sel:DWORD src1_sel:WORD_1
	v_fma_f16 v21, v99, v21, -v91
	v_mul_f16_sdwa v91, v58, v45 dst_sel:DWORD dst_unused:UNUSED_PAD src0_sel:DWORD src1_sel:WORD_1
	v_fma_f16 v91, v92, v45, v91
	v_mul_f16_sdwa v92, v92, v45 dst_sel:DWORD dst_unused:UNUSED_PAD src0_sel:DWORD src1_sel:WORD_1
	v_fma_f16 v45, v58, v45, -v92
	s_waitcnt lgkmcnt(2)
	v_mul_f16_sdwa v58, v100, v46 dst_sel:DWORD dst_unused:UNUSED_PAD src0_sel:DWORD src1_sel:WORD_1
	v_fma_f16 v58, v89, v46, v58
	v_mul_f16_sdwa v89, v89, v46 dst_sel:DWORD dst_unused:UNUSED_PAD src0_sel:DWORD src1_sel:WORD_1
	v_fma_f16 v46, v100, v46, -v89
	s_waitcnt vmcnt(5)
	v_mul_f16_sdwa v89, v59, v47 dst_sel:DWORD dst_unused:UNUSED_PAD src0_sel:DWORD src1_sel:WORD_1
	v_fma_f16 v89, v90, v47, v89
	v_mul_f16_sdwa v90, v90, v47 dst_sel:DWORD dst_unused:UNUSED_PAD src0_sel:DWORD src1_sel:WORD_1
	v_fma_f16 v90, v59, v47, -v90
	s_waitcnt lgkmcnt(1)
	v_mul_f16_sdwa v47, v101, v48 dst_sel:DWORD dst_unused:UNUSED_PAD src0_sel:DWORD src1_sel:WORD_1
	v_fma_f16 v92, v86, v48, v47
	v_mul_f16_sdwa v47, v86, v48 dst_sel:DWORD dst_unused:UNUSED_PAD src0_sel:DWORD src1_sel:WORD_1
	v_fma_f16 v86, v101, v48, -v47
	s_waitcnt vmcnt(4)
	v_mul_f16_sdwa v47, v60, v49 dst_sel:DWORD dst_unused:UNUSED_PAD src0_sel:DWORD src1_sel:WORD_1
	v_fma_f16 v93, v88, v49, v47
	v_mul_f16_sdwa v47, v88, v49 dst_sel:DWORD dst_unused:UNUSED_PAD src0_sel:DWORD src1_sel:WORD_1
	v_fma_f16 v88, v60, v49, -v47
	ds_read_u16 v95, v42
	ds_read_u16 v47, v30 offset:4500
	ds_read_u16 v48, v30 offset:4680
	;; [unrolled: 1-line block ×5, first 2 shown]
	ds_read_u16 v97, v34
	ds_read_u16 v98, v33
	s_waitcnt lgkmcnt(6)
	v_mul_f16_sdwa v99, v47, v50 dst_sel:DWORD dst_unused:UNUSED_PAD src0_sel:DWORD src1_sel:WORD_1
	v_fma_f16 v99, v87, v50, v99
	v_mul_f16_sdwa v87, v87, v50 dst_sel:DWORD dst_unused:UNUSED_PAD src0_sel:DWORD src1_sel:WORD_1
	v_fma_f16 v87, v47, v50, -v87
	v_sub_f16_e32 v50, v45, v46
	s_waitcnt vmcnt(1)
	v_mul_f16_sdwa v47, v61, v15 dst_sel:DWORD dst_unused:UNUSED_PAD src0_sel:DWORD src1_sel:WORD_1
	v_fma_f16 v100, v82, v15, v47
	v_mul_f16_sdwa v47, v82, v15 dst_sel:DWORD dst_unused:UNUSED_PAD src0_sel:DWORD src1_sel:WORD_1
	v_fma_f16 v82, v61, v15, -v47
	ds_read_u16 v47, v30 offset:3060
	s_waitcnt lgkmcnt(6)
	v_mul_f16_sdwa v15, v48, v16 dst_sel:DWORD dst_unused:UNUSED_PAD src0_sel:DWORD src1_sel:WORD_1
	v_fma_f16 v101, v85, v16, v15
	v_mul_f16_sdwa v15, v85, v16 dst_sel:DWORD dst_unused:UNUSED_PAD src0_sel:DWORD src1_sel:WORD_1
	v_fma_f16 v85, v48, v16, -v15
	ds_read_u16 v15, v30 offset:3240
	s_waitcnt lgkmcnt(1)
	v_mul_f16_sdwa v16, v47, v51 dst_sel:DWORD dst_unused:UNUSED_PAD src0_sel:DWORD src1_sel:WORD_1
	v_fma_f16 v105, v83, v51, v16
	v_mul_f16_sdwa v16, v83, v51 dst_sel:DWORD dst_unused:UNUSED_PAD src0_sel:DWORD src1_sel:WORD_1
	v_fma_f16 v83, v47, v51, -v16
	v_mul_f16_sdwa v16, v49, v52 dst_sel:DWORD dst_unused:UNUSED_PAD src0_sel:DWORD src1_sel:WORD_1
	v_fma_f16 v106, v84, v52, v16
	v_mul_f16_sdwa v16, v84, v52 dst_sel:DWORD dst_unused:UNUSED_PAD src0_sel:DWORD src1_sel:WORD_1
	v_fma_f16 v84, v49, v52, -v16
	s_waitcnt lgkmcnt(0)
	v_mul_f16_sdwa v16, v15, v53 dst_sel:DWORD dst_unused:UNUSED_PAD src0_sel:DWORD src1_sel:WORD_1
	v_fma_f16 v107, v80, v53, v16
	v_mul_f16_sdwa v16, v80, v53 dst_sel:DWORD dst_unused:UNUSED_PAD src0_sel:DWORD src1_sel:WORD_1
	v_fma_f16 v80, v15, v53, -v16
	v_mul_f16_sdwa v15, v59, v54 dst_sel:DWORD dst_unused:UNUSED_PAD src0_sel:DWORD src1_sel:WORD_1
	v_fma_f16 v108, v81, v54, v15
	v_mul_f16_sdwa v15, v81, v54 dst_sel:DWORD dst_unused:UNUSED_PAD src0_sel:DWORD src1_sel:WORD_1
	v_fma_f16 v81, v59, v54, -v15
	s_waitcnt vmcnt(0)
	v_mul_f16_sdwa v15, v103, v55 dst_sel:DWORD dst_unused:UNUSED_PAD src0_sel:DWORD src1_sel:WORD_1
	v_fma_f16 v109, v79, v55, v15
	v_mul_f16_sdwa v15, v79, v55 dst_sel:DWORD dst_unused:UNUSED_PAD src0_sel:DWORD src1_sel:WORD_1
	v_fma_f16 v79, v103, v55, -v15
	v_mul_f16_sdwa v15, v60, v56 dst_sel:DWORD dst_unused:UNUSED_PAD src0_sel:DWORD src1_sel:WORD_1
	v_fma_f16 v103, v78, v56, v15
	v_mul_f16_sdwa v15, v78, v56 dst_sel:DWORD dst_unused:UNUSED_PAD src0_sel:DWORD src1_sel:WORD_1
	v_fma_f16 v78, v60, v56, -v15
	v_mov_b32_e32 v15, 0x708
	v_cndmask_b32_e64 v15, 0, v15, s[0:1]
	v_add3_u32 v110, 0, v15, v14
	v_add_f16_e32 v14, v63, v104
	v_fma_f16 v14, v14, -0.5, v75
	v_sub_f16_e32 v15, v5, v17
	v_fma_f16 v16, v15, s6, v14
	v_fma_f16 v14, v15, s7, v14
	v_add_f16_e32 v15, v62, v5
	v_add_f16_e32 v5, v5, v17
	;; [unrolled: 1-line block ×3, first 2 shown]
	v_fma_f16 v5, v5, -0.5, v62
	v_sub_f16_e32 v17, v63, v104
	v_add_f16_e32 v15, v75, v63
	v_fma_f16 v75, v17, s7, v5
	v_fma_f16 v5, v17, s6, v5
	v_add_f16_e32 v17, v96, v18
	v_fma_f16 v17, v17, -0.5, v77
	v_sub_f16_e32 v47, v9, v19
	v_fma_f16 v48, v47, s6, v17
	v_fma_f16 v17, v47, s7, v17
	v_add_f16_e32 v47, v98, v9
	v_add_f16_e32 v15, v15, v104
	;; [unrolled: 1-line block ×5, first 2 shown]
	v_fma_f16 v9, v9, -0.5, v98
	v_add_f16_e32 v19, v19, v18
	v_sub_f16_e32 v18, v96, v18
	v_fma_f16 v77, v18, s7, v9
	v_fma_f16 v18, v18, s6, v9
	v_add_f16_e32 v9, v94, v57
	v_fma_f16 v9, v9, -0.5, v76
	v_sub_f16_e32 v47, v20, v21
	ds_read_u16 v51, v38
	v_fma_f16 v49, v47, s6, v9
	v_fma_f16 v9, v47, s7, v9
	v_add_f16_e32 v47, v97, v20
	v_add_f16_e32 v20, v20, v21
	;; [unrolled: 1-line block ×3, first 2 shown]
	v_fma_f16 v20, v20, -0.5, v97
	v_sub_f16_e32 v47, v94, v57
	v_add_f16_e32 v21, v76, v94
	v_fma_f16 v76, v47, s7, v20
	v_fma_f16 v20, v47, s6, v20
	v_add_f16_e32 v47, v91, v58
	v_fma_f16 v47, v47, -0.5, v74
	v_fma_f16 v52, v50, s6, v47
	v_fma_f16 v47, v50, s7, v47
	s_waitcnt lgkmcnt(0)
	v_add_f16_e32 v50, v51, v45
	v_add_f16_e32 v45, v45, v46
	v_add_f16_e32 v98, v50, v46
	v_fma_f16 v45, v45, -0.5, v51
	v_add_f16_e32 v46, v74, v91
	v_sub_f16_e32 v50, v91, v58
	v_add_f16_e32 v21, v21, v57
	ds_read_u16 v94, v40
	ds_read_u16 v97, v39
	v_add_f16_e32 v46, v46, v58
	v_fma_f16 v74, v50, s7, v45
	v_fma_f16 v91, v50, s6, v45
	v_add_f16_e32 v45, v89, v92
	ds_read_u16 v112, v41
	ds_read_u16 v113, v43
	;; [unrolled: 1-line block ×3, first 2 shown]
	s_waitcnt lgkmcnt(0)
	s_barrier
	ds_write_b16 v30, v15
	ds_write_b16 v30, v16 offset:600
	ds_write_b16 v30, v14 offset:1200
	ds_write_b16 v33, v19
	ds_write_b16 v33, v48 offset:600
	ds_write_b16 v33, v17 offset:1200
	;; [unrolled: 3-line block ×4, first 2 shown]
	v_add_f16_e32 v9, v69, v89
	v_fma_f16 v45, v45, -0.5, v69
	v_sub_f16_e32 v50, v90, v86
	v_add_f16_e32 v9, v9, v92
	v_fma_f16 v51, v50, s6, v45
	v_fma_f16 v45, v50, s7, v45
	v_add_f16_e32 v50, v93, v99
	ds_write_b16 v30, v9 offset:1920
	ds_write_b16 v30, v51 offset:2520
	;; [unrolled: 1-line block ×3, first 2 shown]
	v_add_f16_e32 v9, v72, v93
	v_fma_f16 v50, v50, -0.5, v72
	v_sub_f16_e32 v53, v88, v87
	v_add_f16_e32 v9, v9, v99
	v_fma_f16 v54, v53, s6, v50
	v_fma_f16 v50, v53, s7, v50
	v_add_f16_e32 v53, v100, v101
	ds_write_b16 v30, v9 offset:2100
	ds_write_b16 v30, v54 offset:2700
	;; [unrolled: 1-line block ×3, first 2 shown]
	v_lshlrev_b32_e32 v9, 1, v65
	v_mul_u32_u24_e32 v14, 0x708, v64
	v_fma_f16 v53, v53, -0.5, v73
	v_sub_f16_e32 v55, v82, v85
	v_add3_u32 v17, 0, v14, v9
	v_add_f16_e32 v9, v73, v100
	v_fma_f16 v56, v55, s6, v53
	v_fma_f16 v53, v55, s7, v53
	v_add_f16_e32 v55, v105, v106
	v_add_f16_e32 v9, v9, v101
	v_fma_f16 v55, v55, -0.5, v70
	v_sub_f16_e32 v57, v83, v84
	ds_write_b16 v17, v9
	ds_write_b16 v17, v56 offset:600
	ds_write_b16 v17, v53 offset:1200
	v_add_f16_e32 v9, v70, v105
	v_fma_f16 v58, v57, s6, v55
	v_fma_f16 v55, v57, s7, v55
	v_add_f16_e32 v57, v107, v108
	v_add_f16_e32 v9, v9, v106
	v_lshl_add_u32 v21, v66, 1, 0
	v_fma_f16 v57, v57, -0.5, v71
	v_sub_f16_e32 v59, v80, v81
	ds_write_b16 v21, v9 offset:3600
	ds_write_b16 v21, v58 offset:4200
	;; [unrolled: 1-line block ×3, first 2 shown]
	v_add_f16_e32 v9, v71, v107
	v_fma_f16 v60, v59, s6, v57
	v_fma_f16 v57, v59, s7, v57
	v_add_f16_e32 v59, v109, v103
	v_add_f16_e32 v9, v9, v108
	v_fma_f16 v59, v59, -0.5, v68
	v_sub_f16_e32 v61, v79, v78
	ds_write_b16 v67, v9 offset:3600
	ds_write_b16 v67, v60 offset:4200
	;; [unrolled: 1-line block ×3, first 2 shown]
	v_add_f16_e32 v9, v68, v109
	v_fma_f16 v62, v61, s6, v59
	v_fma_f16 v59, v61, s7, v59
	v_add_f16_e32 v9, v9, v103
	v_lshl_add_u32 v68, v102, 1, 0
	ds_write_b16 v68, v9 offset:3600
	ds_write_b16 v68, v62 offset:4200
	;; [unrolled: 1-line block ×3, first 2 shown]
	s_waitcnt lgkmcnt(0)
	s_barrier
	ds_read_u16 v58, v40
	ds_read_u16 v9, v39
	;; [unrolled: 1-line block ×3, first 2 shown]
	ds_read_u16 v48, v30 offset:3960
	ds_read_u16 v51, v30 offset:4140
	;; [unrolled: 1-line block ×3, first 2 shown]
	ds_read_u16 v39, v30
	ds_read_u16 v40, v30 offset:1800
	ds_read_u16 v45, v30 offset:1980
	;; [unrolled: 1-line block ×7, first 2 shown]
	ds_read_u16 v57, v41
	ds_read_u16 v63, v43
	;; [unrolled: 1-line block ×4, first 2 shown]
	ds_read_u16 v64, v30 offset:3060
	ds_read_u16 v14, v30 offset:3240
	;; [unrolled: 1-line block ×9, first 2 shown]
	ds_read_u16 v50, v34
	ds_read_u16 v46, v33
	ds_read_u16 v16, v30 offset:5220
	s_waitcnt lgkmcnt(0)
	s_barrier
	ds_write_b16 v30, v111
	ds_write_b16 v30, v75 offset:600
	ds_write_b16 v30, v5 offset:1200
	ds_write_b16 v33, v104
	ds_write_b16 v33, v77 offset:600
	ds_write_b16 v33, v18 offset:1200
	;; [unrolled: 3-line block ×4, first 2 shown]
	v_add_f16_e32 v70, v88, v87
	v_add_f16_e32 v76, v83, v84
	v_fma_f16 v70, v70, -0.5, v112
	v_sub_f16_e32 v71, v93, v99
	v_fma_f16 v76, v76, -0.5, v113
	v_sub_f16_e32 v77, v105, v106
	v_fma_f16 v72, v71, s7, v70
	v_fma_f16 v70, v71, s6, v70
	v_add_f16_e32 v71, v94, v82
	v_add_f16_e32 v73, v82, v85
	v_fma_f16 v82, v77, s7, v76
	v_fma_f16 v76, v77, s6, v76
	v_add_f16_e32 v77, v114, v80
	v_add_f16_e32 v80, v80, v81
	v_fma_f16 v73, v73, -0.5, v94
	v_sub_f16_e32 v74, v100, v101
	v_add_f16_e32 v77, v77, v81
	v_fma_f16 v80, v80, -0.5, v114
	v_sub_f16_e32 v81, v107, v108
	v_add_f16_e32 v18, v90, v86
	v_fma_f16 v75, v74, s7, v73
	v_fma_f16 v73, v74, s6, v73
	v_add_f16_e32 v74, v113, v83
	v_fma_f16 v83, v81, s7, v80
	v_fma_f16 v80, v81, s6, v80
	v_add_f16_e32 v81, v97, v79
	v_add_f16_e32 v5, v95, v90
	v_fma_f16 v18, v18, -0.5, v95
	v_sub_f16_e32 v20, v89, v92
	v_add_f16_e32 v81, v81, v78
	v_add_f16_e32 v78, v79, v78
	;; [unrolled: 1-line block ×3, first 2 shown]
	v_fma_f16 v69, v20, s7, v18
	v_fma_f16 v18, v20, s6, v18
	v_add_f16_e32 v20, v112, v88
	v_fma_f16 v78, v78, -0.5, v97
	v_sub_f16_e32 v79, v109, v103
	v_add_f16_e32 v20, v20, v87
	v_add_f16_e32 v71, v71, v85
	;; [unrolled: 1-line block ×3, first 2 shown]
	v_fma_f16 v84, v79, s7, v78
	v_fma_f16 v78, v79, s6, v78
	ds_write_b16 v30, v5 offset:1920
	ds_write_b16 v30, v69 offset:2520
	;; [unrolled: 1-line block ×6, first 2 shown]
	ds_write_b16 v17, v71
	ds_write_b16 v17, v75 offset:600
	ds_write_b16 v17, v73 offset:1200
	;; [unrolled: 1-line block ×11, first 2 shown]
	s_waitcnt lgkmcnt(0)
	s_barrier
	s_and_saveexec_b64 s[0:1], vcc
	s_cbranch_execz .LBB0_15
; %bb.14:
	v_lshlrev_b32_e32 v5, 1, v29
	v_lshlrev_b64 v[17:18], 2, v[5:6]
	v_lshlrev_b32_e32 v5, 1, v28
	v_mov_b32_e32 v67, s13
	v_add_co_u32_e32 v17, vcc, s12, v17
	v_lshlrev_b64 v[20:21], 2, v[5:6]
	v_addc_co_u32_e32 v18, vcc, v67, v18, vcc
	v_add_co_u32_e32 v20, vcc, s12, v20
	global_load_dwordx2 v[17:18], v[17:18], off offset:3588
	v_addc_co_u32_e32 v21, vcc, v67, v21, vcc
	global_load_dwordx2 v[20:21], v[20:21], off offset:3588
	v_lshlrev_b32_e32 v5, 1, v27
	v_sub_u32_e32 v68, 0, v35
	v_sub_u32_e32 v35, 0, v37
	v_mul_lo_u32 v37, s4, v4
	v_lshlrev_b64 v[4:5], 2, v[5:6]
	v_add_u32_e32 v0, v0, v68
	v_add_co_u32_e32 v4, vcc, s12, v4
	v_addc_co_u32_e32 v5, vcc, v67, v5, vcc
	global_load_dwordx2 v[28:29], v[4:5], off offset:3588
	v_add_u32_e32 v5, v32, v35
	ds_read_u16 v44, v44
	ds_read_u16 v70, v43
	ds_read_u16 v71, v30 offset:4320
	ds_read_u16 v72, v30 offset:4140
	;; [unrolled: 1-line block ×8, first 2 shown]
	ds_read_u16 v78, v42
	ds_read_u16 v79, v34
	;; [unrolled: 1-line block ×3, first 2 shown]
	ds_read_u16 v42, v30 offset:5220
	ds_read_u16 v81, v30 offset:5040
	;; [unrolled: 1-line block ×3, first 2 shown]
	ds_read_u16 v83, v5
	ds_read_u16 v41, v41
	;; [unrolled: 1-line block ×3, first 2 shown]
	v_lshlrev_b32_e32 v5, 1, v26
	v_lshlrev_b64 v[26:27], 2, v[5:6]
	v_lshlrev_b32_e32 v5, 1, v25
	v_add_co_u32_e32 v25, vcc, s12, v26
	v_addc_co_u32_e32 v26, vcc, v67, v27, vcc
	global_load_dwordx2 v[34:35], v[25:26], off offset:3588
	v_sub_u32_e32 v69, 0, v36
	v_mul_lo_u32 v36, s5, v3
	v_mad_u64_u32 v[3:4], s[0:1], s4, v3, 0
	v_lshlrev_b64 v[32:33], 2, v[5:6]
	s_mov_b32 s0, 0x91a2b3c5
	v_add3_u32 v4, v4, v37, v36
	v_lshlrev_b64 v[3:4], 2, v[3:4]
	s_movk_i32 s1, 0xa8c
	global_load_dwordx2 v[10:11], v[10:11], off offset:3588
	s_waitcnt vmcnt(4)
	v_mul_f16_sdwa v5, v15, v17 dst_sel:DWORD dst_unused:UNUSED_PAD src0_sel:DWORD src1_sel:WORD_1
	v_mul_f16_sdwa v25, v16, v18 dst_sel:DWORD dst_unused:UNUSED_PAD src0_sel:DWORD src1_sel:WORD_1
	s_waitcnt lgkmcnt(11)
	v_mul_f16_sdwa v26, v43, v17 dst_sel:DWORD dst_unused:UNUSED_PAD src0_sel:DWORD src1_sel:WORD_1
	s_waitcnt lgkmcnt(5)
	v_mul_f16_sdwa v27, v42, v18 dst_sel:DWORD dst_unused:UNUSED_PAD src0_sel:DWORD src1_sel:WORD_1
	v_fma_f16 v5, v17, v43, -v5
	v_fma_f16 v25, v18, v42, -v25
	v_fma_f16 v15, v15, v17, v26
	v_fma_f16 v16, v16, v18, v27
	s_waitcnt vmcnt(3)
	v_mul_f16_sdwa v17, v14, v20 dst_sel:DWORD dst_unused:UNUSED_PAD src0_sel:DWORD src1_sel:WORD_1
	v_mul_f16_sdwa v18, v19, v21 dst_sel:DWORD dst_unused:UNUSED_PAD src0_sel:DWORD src1_sel:WORD_1
	;; [unrolled: 1-line block ×3, first 2 shown]
	s_waitcnt lgkmcnt(4)
	v_mul_f16_sdwa v27, v81, v21 dst_sel:DWORD dst_unused:UNUSED_PAD src0_sel:DWORD src1_sel:WORD_1
	v_add_f16_e32 v36, v5, v25
	s_waitcnt lgkmcnt(2)
	v_add_f16_e32 v42, v83, v5
	v_add_f16_e32 v43, v15, v16
	v_fma_f16 v76, v20, v76, -v17
	v_fma_f16 v81, v21, v81, -v18
	v_sub_f16_e32 v37, v15, v16
	v_sub_f16_e32 v5, v5, v25
	v_add_f16_e32 v15, v9, v15
	v_fma_f16 v84, v14, v20, v26
	v_fma_f16 v14, v36, -0.5, v83
	v_add_f16_e32 v17, v42, v25
	v_fma_f16 v20, v43, -0.5, v9
	v_add_f16_e32 v25, v76, v81
	v_fma_f16 v27, v19, v21, v27
	v_add_f16_e32 v18, v15, v16
	v_fma_f16 v9, v37, s6, v14
	v_fma_f16 v15, v37, s7, v14
	;; [unrolled: 1-line block ×4, first 2 shown]
	v_fma_f16 v5, v25, -0.5, v44
	v_add_co_u32_e32 v25, vcc, s12, v32
	v_sub_f16_e32 v20, v84, v27
	v_addc_co_u32_e32 v26, vcc, v67, v33, vcc
	v_fma_f16 v19, v20, s6, v5
	v_fma_f16 v21, v20, s7, v5
	v_add_f16_e32 v5, v44, v76
	global_load_dwordx2 v[36:37], v[25:26], off offset:3588
	v_add_f16_e32 v26, v5, v81
	v_add_f16_e32 v5, v84, v27
	v_fma_f16 v5, v5, -0.5, v66
	v_sub_f16_e32 v25, v76, v81
	v_fma_f16 v20, v25, s7, v5
	v_fma_f16 v25, v25, s6, v5
	v_add_f16_e32 v5, v66, v84
	v_add_f16_e32 v27, v5, v27
	s_waitcnt vmcnt(3)
	v_mul_f16_sdwa v5, v64, v28 dst_sel:DWORD dst_unused:UNUSED_PAD src0_sel:DWORD src1_sel:WORD_1
	v_fma_f16 v44, v28, v77, -v5
	v_lshlrev_b32_e32 v5, 1, v24
	v_lshlrev_b64 v[32:33], 2, v[5:6]
	v_mul_f16_sdwa v66, v65, v29 dst_sel:DWORD dst_unused:UNUSED_PAD src0_sel:DWORD src1_sel:WORD_1
	v_add_co_u32_e32 v32, vcc, s12, v32
	v_fma_f16 v5, v29, v82, -v66
	v_addc_co_u32_e32 v33, vcc, v67, v33, vcc
	v_add_f16_e32 v24, v44, v5
	global_load_dwordx2 v[42:43], v[32:33], off offset:3588
	v_fma_f16 v32, v24, -0.5, v70
	v_mul_f16_sdwa v24, v77, v28 dst_sel:DWORD dst_unused:UNUSED_PAD src0_sel:DWORD src1_sel:WORD_1
	v_fma_f16 v64, v64, v28, v24
	v_mul_f16_sdwa v24, v82, v29 dst_sel:DWORD dst_unused:UNUSED_PAD src0_sel:DWORD src1_sel:WORD_1
	v_fma_f16 v65, v65, v29, v24
	v_sub_f16_e32 v28, v64, v65
	v_fma_f16 v24, v28, s6, v32
	v_fma_f16 v29, v28, s7, v32
	v_add_f16_e32 v28, v70, v44
	v_add_f16_e32 v33, v28, v5
	;; [unrolled: 1-line block ×3, first 2 shown]
	v_fma_f16 v32, v28, -0.5, v63
	v_sub_f16_e32 v5, v44, v5
	v_fma_f16 v28, v5, s7, v32
	v_fma_f16 v32, v5, s6, v32
	v_lshlrev_b32_e32 v5, 1, v23
	v_lshlrev_b64 v[5:6], 2, v[5:6]
	ds_read_u16 v76, v30 offset:4680
	v_add_co_u32_e32 v5, vcc, s12, v5
	v_addc_co_u32_e32 v6, vcc, v67, v6, vcc
	v_add_f16_e32 v44, v63, v64
	global_load_dwordx2 v[63:64], v[5:6], off offset:3588
	ds_read_u16 v6, v30 offset:2880
	v_add_u32_e32 v23, v31, v69
	ds_read_u16 v31, v23
	v_add_f16_e32 v5, v44, v65
	ds_read_u16 v44, v30 offset:2700
	s_waitcnt vmcnt(4)
	v_mul_f16_sdwa v23, v61, v34 dst_sel:DWORD dst_unused:UNUSED_PAD src0_sel:DWORD src1_sel:WORD_1
	s_waitcnt lgkmcnt(2)
	v_fma_f16 v65, v34, v6, -v23
	v_mul_f16_sdwa v23, v62, v35 dst_sel:DWORD dst_unused:UNUSED_PAD src0_sel:DWORD src1_sel:WORD_1
	v_mul_f16_sdwa v6, v6, v34 dst_sel:DWORD dst_unused:UNUSED_PAD src0_sel:DWORD src1_sel:WORD_1
	v_fma_f16 v67, v35, v76, -v23
	v_fma_f16 v34, v61, v34, v6
	v_mul_f16_sdwa v6, v76, v35 dst_sel:DWORD dst_unused:UNUSED_PAD src0_sel:DWORD src1_sel:WORD_1
	v_add_f16_e32 v23, v65, v67
	v_fma_f16 v35, v62, v35, v6
	s_waitcnt lgkmcnt(1)
	v_fma_f16 v23, v23, -0.5, v31
	v_sub_f16_e32 v61, v34, v35
	v_fma_f16 v6, v61, s6, v23
	v_fma_f16 v23, v61, s7, v23
	global_load_dwordx2 v[61:62], v[7:8], off offset:3588
	ds_read_u16 v66, v30 offset:4500
	global_load_dwordx2 v[12:13], v[12:13], off offset:3588
	v_add_f16_e32 v69, v34, v35
	v_add_f16_e32 v34, v58, v34
	;; [unrolled: 1-line block ×3, first 2 shown]
	v_fma_f16 v8, v69, -0.5, v58
	ds_read_u16 v58, v30 offset:2520
	v_sub_f16_e32 v65, v65, v67
	v_add_f16_e32 v34, v34, v35
	v_fma_f16 v7, v65, s7, v8
	v_fma_f16 v8, v65, s6, v8
	v_add_f16_e32 v31, v31, v67
	v_pack_b32_f16 v8, v8, v23
	s_waitcnt vmcnt(4)
	v_mul_f16_sdwa v35, v59, v36 dst_sel:DWORD dst_unused:UNUSED_PAD src0_sel:DWORD src1_sel:WORD_1
	s_waitcnt lgkmcnt(2)
	v_fma_f16 v65, v36, v44, -v35
	v_mul_f16_sdwa v35, v60, v37 dst_sel:DWORD dst_unused:UNUSED_PAD src0_sel:DWORD src1_sel:WORD_1
	s_waitcnt lgkmcnt(1)
	v_fma_f16 v67, v37, v66, -v35
	v_add_f16_e32 v35, v65, v67
	v_fma_f16 v69, v35, -0.5, v41
	v_mul_f16_sdwa v35, v44, v36 dst_sel:DWORD dst_unused:UNUSED_PAD src0_sel:DWORD src1_sel:WORD_1
	v_fma_f16 v36, v59, v36, v35
	v_mul_f16_sdwa v35, v66, v37 dst_sel:DWORD dst_unused:UNUSED_PAD src0_sel:DWORD src1_sel:WORD_1
	v_fma_f16 v37, v60, v37, v35
	v_sub_f16_e32 v44, v36, v37
	v_add_f16_e32 v59, v36, v37
	v_add_f16_e32 v36, v57, v36
	v_fma_f16 v59, v59, -0.5, v57
	ds_read_u16 v57, v30 offset:2340
	v_sub_f16_e32 v60, v65, v67
	v_add_f16_e32 v36, v36, v37
	v_add_f16_e32 v41, v41, v65
	v_fma_f16 v65, v60, s7, v59
	v_fma_f16 v59, v60, s6, v59
	s_waitcnt vmcnt(3)
	v_mul_f16_sdwa v37, v56, v42 dst_sel:DWORD dst_unused:UNUSED_PAD src0_sel:DWORD src1_sel:WORD_1
	s_waitcnt lgkmcnt(1)
	v_fma_f16 v37, v42, v58, -v37
	v_mul_f16_sdwa v60, v55, v43 dst_sel:DWORD dst_unused:UNUSED_PAD src0_sel:DWORD src1_sel:WORD_1
	v_mul_f16_sdwa v58, v58, v42 dst_sel:DWORD dst_unused:UNUSED_PAD src0_sel:DWORD src1_sel:WORD_1
	v_fma_f16 v60, v43, v71, -v60
	v_fma_f16 v42, v56, v42, v58
	v_mul_f16_sdwa v56, v71, v43 dst_sel:DWORD dst_unused:UNUSED_PAD src0_sel:DWORD src1_sel:WORD_1
	v_add_f16_e32 v66, v37, v60
	v_fma_f16 v43, v55, v43, v56
	v_fma_f16 v66, v66, -0.5, v78
	v_sub_f16_e32 v55, v42, v43
	v_fma_f16 v56, v55, s6, v66
	v_fma_f16 v55, v55, s7, v66
	v_add_f16_e32 v66, v42, v43
	v_add_f16_e32 v58, v78, v37
	v_fma_f16 v66, v66, -0.5, v54
	v_sub_f16_e32 v37, v37, v60
	v_add_f16_e32 v42, v54, v42
	ds_read_u16 v54, v30 offset:2160
	v_add_f16_e32 v58, v58, v60
	v_fma_f16 v60, v37, s7, v66
	v_fma_f16 v37, v37, s6, v66
	v_add_f16_e32 v42, v42, v43
	v_add_f16_e32 v41, v41, v67
	s_waitcnt vmcnt(2)
	v_mul_f16_sdwa v43, v53, v63 dst_sel:DWORD dst_unused:UNUSED_PAD src0_sel:DWORD src1_sel:WORD_1
	v_mul_f16_sdwa v66, v51, v64 dst_sel:DWORD dst_unused:UNUSED_PAD src0_sel:DWORD src1_sel:WORD_1
	s_waitcnt lgkmcnt(1)
	v_fma_f16 v43, v63, v57, -v43
	v_fma_f16 v66, v64, v72, -v66
	v_mul_f16_sdwa v57, v57, v63 dst_sel:DWORD dst_unused:UNUSED_PAD src0_sel:DWORD src1_sel:WORD_1
	v_add_f16_e32 v67, v43, v66
	v_fma_f16 v53, v53, v63, v57
	v_mul_f16_sdwa v57, v72, v64 dst_sel:DWORD dst_unused:UNUSED_PAD src0_sel:DWORD src1_sel:WORD_1
	v_fma_f16 v67, v67, -0.5, v0
	v_fma_f16 v51, v51, v64, v57
	v_add_f16_e32 v0, v0, v43
	v_add_f16_e32 v64, v0, v66
	;; [unrolled: 1-line block ×3, first 2 shown]
	v_fma_f16 v0, v0, -0.5, v52
	v_sub_f16_e32 v43, v43, v66
	v_fma_f16 v66, v43, s7, v0
	v_fma_f16 v43, v43, s6, v0
	v_add_f16_e32 v0, v52, v53
	ds_read_u16 v52, v30 offset:1980
	v_sub_f16_e32 v57, v53, v51
	v_add_f16_e32 v51, v0, v51
	s_waitcnt vmcnt(1)
	v_mul_f16_sdwa v0, v49, v61 dst_sel:DWORD dst_unused:UNUSED_PAD src0_sel:DWORD src1_sel:WORD_1
	s_waitcnt lgkmcnt(1)
	v_fma_f16 v0, v61, v54, -v0
	v_mul_f16_sdwa v53, v48, v62 dst_sel:DWORD dst_unused:UNUSED_PAD src0_sel:DWORD src1_sel:WORD_1
	v_mul_f16_sdwa v54, v54, v61 dst_sel:DWORD dst_unused:UNUSED_PAD src0_sel:DWORD src1_sel:WORD_1
	v_fma_f16 v53, v62, v73, -v53
	v_fma_f16 v49, v49, v61, v54
	v_mul_f16_sdwa v54, v73, v62 dst_sel:DWORD dst_unused:UNUSED_PAD src0_sel:DWORD src1_sel:WORD_1
	v_fma_f16 v63, v57, s6, v67
	v_fma_f16 v57, v57, s7, v67
	v_add_f16_e32 v67, v0, v53
	v_fma_f16 v48, v48, v62, v54
	v_fma_f16 v67, v67, -0.5, v79
	v_sub_f16_e32 v54, v49, v48
	v_fma_f16 v61, v54, s6, v67
	v_fma_f16 v54, v54, s7, v67
	v_add_f16_e32 v67, v49, v48
	v_add_f16_e32 v62, v79, v0
	v_fma_f16 v67, v67, -0.5, v50
	v_sub_f16_e32 v0, v0, v53
	v_add_f16_e32 v62, v62, v53
	v_fma_f16 v53, v0, s7, v67
	v_fma_f16 v67, v0, s6, v67
	v_add_f16_e32 v0, v50, v49
	v_add_f16_e32 v48, v0, v48
	s_waitcnt vmcnt(0)
	v_mul_f16_sdwa v0, v45, v12 dst_sel:DWORD dst_unused:UNUSED_PAD src0_sel:DWORD src1_sel:WORD_1
	s_waitcnt lgkmcnt(0)
	v_fma_f16 v0, v12, v52, -v0
	v_mul_f16_sdwa v50, v47, v13 dst_sel:DWORD dst_unused:UNUSED_PAD src0_sel:DWORD src1_sel:WORD_1
	v_mul_f16_sdwa v52, v52, v12 dst_sel:DWORD dst_unused:UNUSED_PAD src0_sel:DWORD src1_sel:WORD_1
	v_fma_f16 v50, v13, v74, -v50
	v_fma_f16 v12, v45, v12, v52
	v_mul_f16_sdwa v45, v74, v13 dst_sel:DWORD dst_unused:UNUSED_PAD src0_sel:DWORD src1_sel:WORD_1
	v_add_f16_e32 v68, v0, v50
	v_fma_f16 v13, v47, v13, v45
	ds_read_u16 v49, v30
	ds_read_u16 v30, v30 offset:1800
	v_fma_f16 v68, v68, -0.5, v80
	v_sub_f16_e32 v45, v12, v13
	v_fma_f16 v47, v45, s6, v68
	v_fma_f16 v45, v45, s7, v68
	v_add_f16_e32 v68, v12, v13
	v_add_f16_e32 v52, v80, v0
	v_fma_f16 v68, v68, -0.5, v46
	v_sub_f16_e32 v0, v0, v50
	v_add_f16_e32 v52, v52, v50
	v_fma_f16 v50, v0, s7, v68
	v_fma_f16 v68, v0, s6, v68
	v_add_f16_e32 v0, v46, v12
	v_add_f16_e32 v46, v0, v13
	v_mul_f16_sdwa v0, v40, v10 dst_sel:DWORD dst_unused:UNUSED_PAD src0_sel:DWORD src1_sel:WORD_1
	s_waitcnt lgkmcnt(0)
	v_fma_f16 v0, v10, v30, -v0
	v_mul_f16_sdwa v12, v38, v11 dst_sel:DWORD dst_unused:UNUSED_PAD src0_sel:DWORD src1_sel:WORD_1
	v_mul_f16_sdwa v30, v30, v10 dst_sel:DWORD dst_unused:UNUSED_PAD src0_sel:DWORD src1_sel:WORD_1
	v_fma_f16 v12, v11, v75, -v12
	v_fma_f16 v30, v40, v10, v30
	v_mul_f16_sdwa v10, v75, v11 dst_sel:DWORD dst_unused:UNUSED_PAD src0_sel:DWORD src1_sel:WORD_1
	v_add_f16_e32 v13, v0, v12
	v_fma_f16 v38, v38, v11, v10
	v_fma_f16 v13, v13, -0.5, v49
	v_sub_f16_e32 v10, v30, v38
	v_fma_f16 v40, v10, s6, v13
	v_fma_f16 v13, v10, s7, v13
	v_mul_hi_u32 v10, v22, s0
	v_add_f16_e32 v11, v49, v0
	v_add_f16_e32 v49, v11, v12
	v_sub_f16_e32 v71, v0, v12
	v_lshrrev_b32_e32 v10, 9, v10
	v_mul_u32_u24_e32 v10, 0x384, v10
	v_sub_u32_e32 v70, v22, v10
	v_mad_u64_u32 v[10:11], s[4:5], s2, v70, 0
	v_fma_f16 v35, v44, s6, v69
	v_fma_f16 v44, v44, s7, v69
	v_mov_b32_e32 v0, v11
	v_add_f16_e32 v69, v30, v38
	v_mad_u64_u32 v[11:12], s[4:5], s3, v70, v[0:1]
	v_add_f16_e32 v0, v39, v30
	v_fma_f16 v69, v69, -0.5, v39
	v_add_f16_e32 v30, v0, v38
	v_mov_b32_e32 v0, s11
	v_add_co_u32_e32 v38, vcc, s10, v3
	v_add_u32_e32 v39, 0x384, v70
	v_addc_co_u32_e32 v4, vcc, v0, v4, vcc
	v_lshlrev_b64 v[0:1], 2, v[1:2]
	v_mad_u64_u32 v[2:3], s[4:5], s2, v39, 0
	v_add_co_u32_e32 v0, vcc, v38, v0
	v_lshlrev_b64 v[10:11], 2, v[10:11]
	v_addc_co_u32_e32 v1, vcc, v4, v1, vcc
	v_mad_u64_u32 v[3:4], s[4:5], s3, v39, v[3:4]
	v_add_co_u32_e32 v10, vcc, v0, v10
	v_addc_co_u32_e32 v11, vcc, v1, v11, vcc
	v_pack_b32_f16 v4, v30, v49
	v_add_u32_e32 v30, 0x708, v70
	global_store_dword v[10:11], v4, off
	v_mad_u64_u32 v[10:11], s[4:5], s2, v30, 0
	v_fma_f16 v12, v71, s6, v69
	v_pack_b32_f16 v13, v12, v13
	v_mov_b32_e32 v4, v11
	v_mad_u64_u32 v[11:12], s[4:5], s3, v30, v[4:5]
	v_add_u32_e32 v4, 0x5a, v22
	v_lshlrev_b64 v[2:3], 2, v[2:3]
	v_mul_hi_u32 v12, v4, s0
	v_add_co_u32_e32 v2, vcc, v0, v2
	v_addc_co_u32_e32 v3, vcc, v1, v3, vcc
	global_store_dword v[2:3], v13, off
	v_lshlrev_b64 v[2:3], 2, v[10:11]
	v_lshrrev_b32_e32 v10, 9, v12
	v_mul_u32_u24_e32 v11, 0x384, v10
	v_sub_u32_e32 v4, v4, v11
	v_mad_u32_u24 v30, v10, s1, v4
	v_mad_u64_u32 v[10:11], s[4:5], s2, v30, 0
	v_add_u32_e32 v39, 0x384, v30
	v_fma_f16 v72, v71, s7, v69
	v_mov_b32_e32 v4, v11
	v_mad_u64_u32 v[11:12], s[4:5], s3, v30, v[4:5]
	v_mad_u64_u32 v[12:13], s[4:5], s2, v39, 0
	v_add_co_u32_e32 v2, vcc, v0, v2
	v_addc_co_u32_e32 v3, vcc, v1, v3, vcc
	v_pack_b32_f16 v38, v72, v40
	v_mov_b32_e32 v4, v13
	global_store_dword v[2:3], v38, off
	v_lshlrev_b64 v[2:3], 2, v[10:11]
	v_mad_u64_u32 v[10:11], s[4:5], s3, v39, v[4:5]
	v_add_co_u32_e32 v2, vcc, v0, v2
	v_addc_co_u32_e32 v3, vcc, v1, v3, vcc
	v_pack_b32_f16 v4, v46, v52
	v_mov_b32_e32 v13, v10
	global_store_dword v[2:3], v4, off
	v_lshlrev_b64 v[2:3], 2, v[12:13]
	v_add_u32_e32 v12, 0x708, v30
	v_mad_u64_u32 v[10:11], s[4:5], s2, v12, 0
	v_add_co_u32_e32 v2, vcc, v0, v2
	v_mov_b32_e32 v4, v11
	v_mad_u64_u32 v[11:12], s[4:5], s3, v12, v[4:5]
	v_add_u32_e32 v4, 0xb4, v22
	v_mul_hi_u32 v12, v4, s0
	v_addc_co_u32_e32 v3, vcc, v1, v3, vcc
	v_pack_b32_f16 v13, v68, v45
	global_store_dword v[2:3], v13, off
	v_lshlrev_b64 v[2:3], 2, v[10:11]
	v_lshrrev_b32_e32 v10, 9, v12
	v_mul_u32_u24_e32 v11, 0x384, v10
	v_sub_u32_e32 v4, v4, v11
	v_mad_u32_u24 v30, v10, s1, v4
	v_mad_u64_u32 v[10:11], s[4:5], s2, v30, 0
	v_add_u32_e32 v39, 0x384, v30
	v_add_co_u32_e32 v2, vcc, v0, v2
	v_mov_b32_e32 v4, v11
	v_mad_u64_u32 v[11:12], s[4:5], s3, v30, v[4:5]
	v_mad_u64_u32 v[12:13], s[4:5], s2, v39, 0
	v_addc_co_u32_e32 v3, vcc, v1, v3, vcc
	v_pack_b32_f16 v38, v50, v47
	v_mov_b32_e32 v4, v13
	global_store_dword v[2:3], v38, off
	v_lshlrev_b64 v[2:3], 2, v[10:11]
	v_mad_u64_u32 v[10:11], s[4:5], s3, v39, v[4:5]
	v_add_co_u32_e32 v2, vcc, v0, v2
	v_addc_co_u32_e32 v3, vcc, v1, v3, vcc
	v_pack_b32_f16 v4, v48, v62
	v_mov_b32_e32 v13, v10
	global_store_dword v[2:3], v4, off
	v_lshlrev_b64 v[2:3], 2, v[12:13]
	v_add_u32_e32 v12, 0x708, v30
	v_mad_u64_u32 v[10:11], s[4:5], s2, v12, 0
	v_add_co_u32_e32 v2, vcc, v0, v2
	v_mov_b32_e32 v4, v11
	v_mad_u64_u32 v[11:12], s[4:5], s3, v12, v[4:5]
	v_add_u32_e32 v4, 0x10e, v22
	v_mul_hi_u32 v12, v4, s0
	v_addc_co_u32_e32 v3, vcc, v1, v3, vcc
	v_pack_b32_f16 v13, v67, v54
	global_store_dword v[2:3], v13, off
	v_lshlrev_b64 v[2:3], 2, v[10:11]
	v_lshrrev_b32_e32 v10, 9, v12
	v_mul_u32_u24_e32 v11, 0x384, v10
	v_sub_u32_e32 v4, v4, v11
	v_mad_u32_u24 v30, v10, s1, v4
	v_mad_u64_u32 v[10:11], s[4:5], s2, v30, 0
	v_add_u32_e32 v39, 0x384, v30
	v_add_co_u32_e32 v2, vcc, v0, v2
	v_mov_b32_e32 v4, v11
	v_mad_u64_u32 v[11:12], s[4:5], s3, v30, v[4:5]
	v_mad_u64_u32 v[12:13], s[4:5], s2, v39, 0
	;; [unrolled: 33-line block ×5, first 2 shown]
	v_addc_co_u32_e32 v3, vcc, v1, v3, vcc
	v_pack_b32_f16 v35, v65, v35
	v_mov_b32_e32 v4, v13
	global_store_dword v[2:3], v35, off
	v_lshlrev_b64 v[2:3], 2, v[10:11]
	v_mad_u64_u32 v[10:11], s[4:5], s3, v36, v[4:5]
	v_add_co_u32_e32 v2, vcc, v0, v2
	v_addc_co_u32_e32 v3, vcc, v1, v3, vcc
	v_pack_b32_f16 v4, v34, v31
	v_mov_b32_e32 v13, v10
	global_store_dword v[2:3], v4, off
	v_lshlrev_b64 v[2:3], 2, v[12:13]
	v_add_u32_e32 v12, 0x708, v30
	v_mad_u64_u32 v[10:11], s[4:5], s2, v12, 0
	v_add_co_u32_e32 v2, vcc, v0, v2
	v_mov_b32_e32 v4, v11
	v_mad_u64_u32 v[11:12], s[4:5], s3, v12, v[4:5]
	v_add_u32_e32 v4, 0x276, v22
	v_mul_hi_u32 v12, v4, s0
	v_addc_co_u32_e32 v3, vcc, v1, v3, vcc
	global_store_dword v[2:3], v8, off
	v_lshrrev_b32_e32 v8, 9, v12
	v_lshlrev_b64 v[2:3], 2, v[10:11]
	v_mul_u32_u24_e32 v10, 0x384, v8
	v_sub_u32_e32 v4, v4, v10
	v_mad_u32_u24 v12, v8, s1, v4
	v_mad_u64_u32 v[10:11], s[4:5], s2, v12, 0
	v_pack_b32_f16 v13, v7, v6
	v_add_u32_e32 v23, 0x384, v12
	v_mov_b32_e32 v4, v11
	v_mad_u64_u32 v[6:7], s[4:5], s3, v12, v[4:5]
	v_add_co_u32_e32 v2, vcc, v0, v2
	v_mad_u64_u32 v[7:8], s[4:5], s2, v23, 0
	v_addc_co_u32_e32 v3, vcc, v1, v3, vcc
	v_mov_b32_e32 v11, v6
	global_store_dword v[2:3], v13, off
	v_lshlrev_b64 v[2:3], 2, v[10:11]
	v_mov_b32_e32 v4, v8
	v_add_co_u32_e32 v2, vcc, v0, v2
	v_mad_u64_u32 v[10:11], s[4:5], s3, v23, v[4:5]
	v_addc_co_u32_e32 v3, vcc, v1, v3, vcc
	v_pack_b32_f16 v4, v5, v33
	v_add_u32_e32 v6, 0x708, v12
	global_store_dword v[2:3], v4, off
	v_mad_u64_u32 v[4:5], s[4:5], s2, v6, 0
	v_mov_b32_e32 v8, v10
	v_lshlrev_b64 v[2:3], 2, v[7:8]
	v_mad_u64_u32 v[5:6], s[4:5], s3, v6, v[5:6]
	v_add_u32_e32 v6, 0x2d0, v22
	v_mul_hi_u32 v8, v6, s0
	v_add_co_u32_e32 v2, vcc, v0, v2
	v_addc_co_u32_e32 v3, vcc, v1, v3, vcc
	v_pack_b32_f16 v7, v32, v29
	global_store_dword v[2:3], v7, off
	v_lshlrev_b64 v[2:3], 2, v[4:5]
	v_lshrrev_b32_e32 v4, 9, v8
	v_mul_u32_u24_e32 v5, 0x384, v4
	v_sub_u32_e32 v5, v6, v5
	v_mad_u32_u24 v8, v4, s1, v5
	v_mad_u64_u32 v[4:5], s[4:5], s2, v8, 0
	v_add_u32_e32 v11, 0x384, v8
	v_add_co_u32_e32 v2, vcc, v0, v2
	v_mad_u64_u32 v[5:6], s[4:5], s3, v8, v[5:6]
	v_mad_u64_u32 v[6:7], s[4:5], s2, v11, 0
	v_addc_co_u32_e32 v3, vcc, v1, v3, vcc
	v_pack_b32_f16 v10, v28, v24
	global_store_dword v[2:3], v10, off
	v_lshlrev_b64 v[2:3], 2, v[4:5]
	v_mov_b32_e32 v4, v7
	v_mad_u64_u32 v[4:5], s[4:5], s3, v11, v[4:5]
	v_add_co_u32_e32 v2, vcc, v0, v2
	v_addc_co_u32_e32 v3, vcc, v1, v3, vcc
	v_pack_b32_f16 v5, v27, v26
	v_mov_b32_e32 v7, v4
	global_store_dword v[2:3], v5, off
	v_lshlrev_b64 v[2:3], 2, v[6:7]
	v_add_u32_e32 v6, 0x708, v8
	v_mad_u64_u32 v[4:5], s[4:5], s2, v6, 0
	v_add_u32_e32 v7, 0x32a, v22
	v_mul_hi_u32 v10, v7, s0
	v_mad_u64_u32 v[5:6], s[4:5], s3, v6, v[5:6]
	v_add_co_u32_e32 v2, vcc, v0, v2
	v_lshrrev_b32_e32 v6, 9, v10
	v_mul_u32_u24_e32 v10, 0x384, v6
	v_sub_u32_e32 v7, v7, v10
	v_mad_u32_u24 v10, v6, s1, v7
	v_mad_u64_u32 v[6:7], s[0:1], s2, v10, 0
	v_addc_co_u32_e32 v3, vcc, v1, v3, vcc
	v_pack_b32_f16 v8, v25, v21
	global_store_dword v[2:3], v8, off
	v_lshlrev_b64 v[2:3], 2, v[4:5]
	v_mov_b32_e32 v4, v7
	v_mad_u64_u32 v[4:5], s[0:1], s3, v10, v[4:5]
	v_add_co_u32_e32 v2, vcc, v0, v2
	v_addc_co_u32_e32 v3, vcc, v1, v3, vcc
	v_pack_b32_f16 v5, v20, v19
	v_mov_b32_e32 v7, v4
	global_store_dword v[2:3], v5, off
	v_lshlrev_b64 v[2:3], 2, v[6:7]
	v_add_u32_e32 v6, 0x384, v10
	v_mad_u64_u32 v[4:5], s[0:1], s2, v6, 0
	v_add_u32_e32 v10, 0x708, v10
	v_add_co_u32_e32 v2, vcc, v0, v2
	v_mad_u64_u32 v[5:6], s[0:1], s3, v6, v[5:6]
	v_mad_u64_u32 v[6:7], s[0:1], s2, v10, 0
	v_addc_co_u32_e32 v3, vcc, v1, v3, vcc
	v_pack_b32_f16 v8, v18, v17
	global_store_dword v[2:3], v8, off
	v_lshlrev_b64 v[2:3], 2, v[4:5]
	v_mov_b32_e32 v4, v7
	v_mad_u64_u32 v[4:5], s[0:1], s3, v10, v[4:5]
	v_add_co_u32_e32 v2, vcc, v0, v2
	v_addc_co_u32_e32 v3, vcc, v1, v3, vcc
	v_pack_b32_f16 v5, v16, v15
	v_mov_b32_e32 v7, v4
	global_store_dword v[2:3], v5, off
	v_lshlrev_b64 v[2:3], 2, v[6:7]
	v_add_co_u32_e32 v0, vcc, v0, v2
	v_addc_co_u32_e32 v1, vcc, v1, v3, vcc
	v_pack_b32_f16 v2, v14, v9
	global_store_dword v[0:1], v2, off
.LBB0_15:
	s_endpgm
	.section	.rodata,"a",@progbits
	.p2align	6, 0x0
	.amdhsa_kernel fft_rtc_back_len2700_factors_3_10_10_3_3_wgs_90_tpt_90_halfLds_half_op_CI_CI_sbrr_dirReg
		.amdhsa_group_segment_fixed_size 0
		.amdhsa_private_segment_fixed_size 0
		.amdhsa_kernarg_size 104
		.amdhsa_user_sgpr_count 6
		.amdhsa_user_sgpr_private_segment_buffer 1
		.amdhsa_user_sgpr_dispatch_ptr 0
		.amdhsa_user_sgpr_queue_ptr 0
		.amdhsa_user_sgpr_kernarg_segment_ptr 1
		.amdhsa_user_sgpr_dispatch_id 0
		.amdhsa_user_sgpr_flat_scratch_init 0
		.amdhsa_user_sgpr_private_segment_size 0
		.amdhsa_uses_dynamic_stack 0
		.amdhsa_system_sgpr_private_segment_wavefront_offset 0
		.amdhsa_system_sgpr_workgroup_id_x 1
		.amdhsa_system_sgpr_workgroup_id_y 0
		.amdhsa_system_sgpr_workgroup_id_z 0
		.amdhsa_system_sgpr_workgroup_info 0
		.amdhsa_system_vgpr_workitem_id 0
		.amdhsa_next_free_vgpr 125
		.amdhsa_next_free_sgpr 32
		.amdhsa_reserve_vcc 1
		.amdhsa_reserve_flat_scratch 0
		.amdhsa_float_round_mode_32 0
		.amdhsa_float_round_mode_16_64 0
		.amdhsa_float_denorm_mode_32 3
		.amdhsa_float_denorm_mode_16_64 3
		.amdhsa_dx10_clamp 1
		.amdhsa_ieee_mode 1
		.amdhsa_fp16_overflow 0
		.amdhsa_exception_fp_ieee_invalid_op 0
		.amdhsa_exception_fp_denorm_src 0
		.amdhsa_exception_fp_ieee_div_zero 0
		.amdhsa_exception_fp_ieee_overflow 0
		.amdhsa_exception_fp_ieee_underflow 0
		.amdhsa_exception_fp_ieee_inexact 0
		.amdhsa_exception_int_div_zero 0
	.end_amdhsa_kernel
	.text
.Lfunc_end0:
	.size	fft_rtc_back_len2700_factors_3_10_10_3_3_wgs_90_tpt_90_halfLds_half_op_CI_CI_sbrr_dirReg, .Lfunc_end0-fft_rtc_back_len2700_factors_3_10_10_3_3_wgs_90_tpt_90_halfLds_half_op_CI_CI_sbrr_dirReg
                                        ; -- End function
	.section	.AMDGPU.csdata,"",@progbits
; Kernel info:
; codeLenInByte = 22100
; NumSgprs: 36
; NumVgprs: 125
; ScratchSize: 0
; MemoryBound: 0
; FloatMode: 240
; IeeeMode: 1
; LDSByteSize: 0 bytes/workgroup (compile time only)
; SGPRBlocks: 4
; VGPRBlocks: 31
; NumSGPRsForWavesPerEU: 36
; NumVGPRsForWavesPerEU: 125
; Occupancy: 2
; WaveLimiterHint : 1
; COMPUTE_PGM_RSRC2:SCRATCH_EN: 0
; COMPUTE_PGM_RSRC2:USER_SGPR: 6
; COMPUTE_PGM_RSRC2:TRAP_HANDLER: 0
; COMPUTE_PGM_RSRC2:TGID_X_EN: 1
; COMPUTE_PGM_RSRC2:TGID_Y_EN: 0
; COMPUTE_PGM_RSRC2:TGID_Z_EN: 0
; COMPUTE_PGM_RSRC2:TIDIG_COMP_CNT: 0
	.type	__hip_cuid_470de5fd2d735258,@object ; @__hip_cuid_470de5fd2d735258
	.section	.bss,"aw",@nobits
	.globl	__hip_cuid_470de5fd2d735258
__hip_cuid_470de5fd2d735258:
	.byte	0                               ; 0x0
	.size	__hip_cuid_470de5fd2d735258, 1

	.ident	"AMD clang version 19.0.0git (https://github.com/RadeonOpenCompute/llvm-project roc-6.4.0 25133 c7fe45cf4b819c5991fe208aaa96edf142730f1d)"
	.section	".note.GNU-stack","",@progbits
	.addrsig
	.addrsig_sym __hip_cuid_470de5fd2d735258
	.amdgpu_metadata
---
amdhsa.kernels:
  - .args:
      - .actual_access:  read_only
        .address_space:  global
        .offset:         0
        .size:           8
        .value_kind:     global_buffer
      - .offset:         8
        .size:           8
        .value_kind:     by_value
      - .actual_access:  read_only
        .address_space:  global
        .offset:         16
        .size:           8
        .value_kind:     global_buffer
      - .actual_access:  read_only
        .address_space:  global
        .offset:         24
        .size:           8
        .value_kind:     global_buffer
      - .actual_access:  read_only
        .address_space:  global
        .offset:         32
        .size:           8
        .value_kind:     global_buffer
      - .offset:         40
        .size:           8
        .value_kind:     by_value
      - .actual_access:  read_only
        .address_space:  global
        .offset:         48
        .size:           8
        .value_kind:     global_buffer
      - .actual_access:  read_only
        .address_space:  global
        .offset:         56
        .size:           8
        .value_kind:     global_buffer
      - .offset:         64
        .size:           4
        .value_kind:     by_value
      - .actual_access:  read_only
        .address_space:  global
        .offset:         72
        .size:           8
        .value_kind:     global_buffer
      - .actual_access:  read_only
        .address_space:  global
        .offset:         80
        .size:           8
        .value_kind:     global_buffer
      - .actual_access:  read_only
        .address_space:  global
        .offset:         88
        .size:           8
        .value_kind:     global_buffer
      - .actual_access:  write_only
        .address_space:  global
        .offset:         96
        .size:           8
        .value_kind:     global_buffer
    .group_segment_fixed_size: 0
    .kernarg_segment_align: 8
    .kernarg_segment_size: 104
    .language:       OpenCL C
    .language_version:
      - 2
      - 0
    .max_flat_workgroup_size: 90
    .name:           fft_rtc_back_len2700_factors_3_10_10_3_3_wgs_90_tpt_90_halfLds_half_op_CI_CI_sbrr_dirReg
    .private_segment_fixed_size: 0
    .sgpr_count:     36
    .sgpr_spill_count: 0
    .symbol:         fft_rtc_back_len2700_factors_3_10_10_3_3_wgs_90_tpt_90_halfLds_half_op_CI_CI_sbrr_dirReg.kd
    .uniform_work_group_size: 1
    .uses_dynamic_stack: false
    .vgpr_count:     125
    .vgpr_spill_count: 0
    .wavefront_size: 64
amdhsa.target:   amdgcn-amd-amdhsa--gfx906
amdhsa.version:
  - 1
  - 2
...

	.end_amdgpu_metadata
